;; amdgpu-corpus repo=ROCm/rocFFT kind=compiled arch=gfx906 opt=O3
	.text
	.amdgcn_target "amdgcn-amd-amdhsa--gfx906"
	.amdhsa_code_object_version 6
	.protected	bluestein_single_fwd_len1275_dim1_dp_op_CI_CI ; -- Begin function bluestein_single_fwd_len1275_dim1_dp_op_CI_CI
	.globl	bluestein_single_fwd_len1275_dim1_dp_op_CI_CI
	.p2align	8
	.type	bluestein_single_fwd_len1275_dim1_dp_op_CI_CI,@function
bluestein_single_fwd_len1275_dim1_dp_op_CI_CI: ; @bluestein_single_fwd_len1275_dim1_dp_op_CI_CI
; %bb.0:
	s_mov_b64 s[66:67], s[2:3]
	v_mul_u32_u24_e32 v1, 0x304, v0
	s_mov_b64 s[64:65], s[0:1]
	s_load_dwordx4 s[0:3], s[4:5], 0x28
	v_lshrrev_b32_e32 v1, 16, v1
	s_add_u32 s64, s64, s7
	v_mad_u64_u32 v[238:239], s[6:7], s6, 3, v[1:2]
	v_mov_b32_e32 v239, 0
	s_addc_u32 s65, s65, 0
	s_waitcnt lgkmcnt(0)
	v_cmp_gt_u64_e32 vcc, s[0:1], v[238:239]
	s_and_saveexec_b64 s[0:1], vcc
	s_cbranch_execz .LBB0_15
; %bb.1:
	s_mov_b32 s0, 0xaaaaaaab
	v_mul_hi_u32 v2, v238, s0
	v_mul_lo_u16_e32 v1, 0x55, v1
	s_load_dwordx2 s[12:13], s[4:5], 0x0
	s_load_dwordx2 s[14:15], s[4:5], 0x38
	v_sub_u16_e32 v239, v0, v1
	v_lshrrev_b32_e32 v0, 1, v2
	v_lshl_add_u32 v0, v0, 1, v0
	v_sub_u32_e32 v0, v238, v0
	v_mul_u32_u24_e32 v236, 0x4fb, v0
	s_movk_i32 s0, 0x4b
	v_cmp_gt_u16_e64 s[0:1], s0, v239
	v_lshlrev_b32_e32 v237, 4, v239
	v_lshlrev_b32_e32 v241, 4, v236
	s_and_saveexec_b64 s[6:7], s[0:1]
	s_cbranch_execz .LBB0_3
; %bb.2:
	s_load_dwordx2 s[8:9], s[4:5], 0x18
	s_waitcnt lgkmcnt(0)
	v_mov_b32_e32 v20, s13
	s_load_dwordx4 s[8:11], s[8:9], 0x0
	s_waitcnt lgkmcnt(0)
	v_mad_u64_u32 v[0:1], s[16:17], s10, v238, 0
	v_mad_u64_u32 v[2:3], s[16:17], s8, v239, 0
	;; [unrolled: 1-line block ×4, first 2 shown]
	v_mov_b32_e32 v1, v4
	v_lshlrev_b64 v[0:1], 4, v[0:1]
	v_mov_b32_e32 v3, v5
	v_mov_b32_e32 v6, s3
	v_lshlrev_b64 v[2:3], 4, v[2:3]
	v_add_co_u32_e32 v0, vcc, s2, v0
	v_addc_co_u32_e32 v1, vcc, v6, v1, vcc
	v_add_co_u32_e32 v40, vcc, v0, v2
	v_addc_co_u32_e32 v41, vcc, v1, v3, vcc
	global_load_dwordx4 v[0:3], v237, s[12:13]
	global_load_dwordx4 v[4:7], v[40:41], off
	v_add_co_u32_e32 v118, vcc, s12, v237
	s_movk_i32 s2, 0x1000
	s_movk_i32 s3, 0x2000
	v_addc_co_u32_e32 v119, vcc, 0, v20, vcc
	v_add_co_u32_e32 v42, vcc, s2, v118
	v_add_co_u32_e64 v88, s[2:3], s3, v118
	v_addc_co_u32_e32 v43, vcc, 0, v119, vcc
	v_addc_co_u32_e64 v89, vcc, 0, v119, s[2:3]
	s_mul_i32 s3, s9, 0x4b0
	s_mul_hi_u32 s9, s8, 0x4b0
	s_mul_i32 s2, s8, 0x4b0
	s_add_i32 s3, s9, s3
	global_load_dwordx4 v[8:11], v237, s[12:13] offset:1200
	global_load_dwordx4 v[12:15], v237, s[12:13] offset:2400
	;; [unrolled: 1-line block ×3, first 2 shown]
	global_load_dwordx4 v[20:23], v[42:43], off offset:704
	global_load_dwordx4 v[24:27], v[42:43], off offset:1904
	;; [unrolled: 1-line block ×5, first 2 shown]
	v_mov_b32_e32 v42, s3
	v_add_co_u32_e32 v43, vcc, s2, v40
	v_addc_co_u32_e32 v44, vcc, v41, v42, vcc
	v_mov_b32_e32 v46, s3
	v_add_co_u32_e32 v45, vcc, s2, v43
	v_addc_co_u32_e32 v46, vcc, v44, v46, vcc
	v_mov_b32_e32 v47, s3
	v_add_co_u32_e32 v51, vcc, s2, v45
	v_addc_co_u32_e32 v52, vcc, v46, v47, vcc
	v_mov_b32_e32 v53, s3
	v_add_co_u32_e32 v55, vcc, s2, v51
	v_addc_co_u32_e32 v56, vcc, v52, v53, vcc
	v_mov_b32_e32 v57, s3
	v_add_co_u32_e32 v59, vcc, s2, v55
	global_load_dwordx4 v[40:43], v[43:44], off
	v_addc_co_u32_e32 v60, vcc, v56, v57, vcc
	global_load_dwordx4 v[48:51], v[51:52], off
	v_mov_b32_e32 v61, s3
	global_load_dwordx4 v[44:47], v[45:46], off
	v_add_co_u32_e32 v63, vcc, s2, v59
	global_load_dwordx4 v[52:55], v[55:56], off
	v_addc_co_u32_e32 v64, vcc, v60, v61, vcc
	v_mov_b32_e32 v65, s3
	v_add_co_u32_e32 v67, vcc, s2, v63
	v_addc_co_u32_e32 v68, vcc, v64, v65, vcc
	v_mov_b32_e32 v69, s3
	v_add_co_u32_e32 v71, vcc, s2, v67
	;; [unrolled: 3-line block ×3, first 2 shown]
	global_load_dwordx4 v[56:59], v[59:60], off
	v_addc_co_u32_e32 v77, vcc, v72, v73, vcc
	global_load_dwordx4 v[60:63], v[63:64], off
	v_mov_b32_e32 v78, s3
	v_add_co_u32_e32 v90, vcc, s2, v76
	global_load_dwordx4 v[64:67], v[67:68], off
	v_addc_co_u32_e32 v91, vcc, v77, v78, vcc
	global_load_dwordx4 v[68:71], v[71:72], off
	v_add_co_u32_e32 v92, vcc, s2, v90
	global_load_dwordx4 v[72:75], v[76:77], off
	s_nop 0
	global_load_dwordx4 v[76:79], v[90:91], off
	global_load_dwordx4 v[80:83], v[88:89], off offset:2608
	global_load_dwordx4 v[84:87], v[88:89], off offset:3808
	v_mov_b32_e32 v88, s3
	v_addc_co_u32_e32 v93, vcc, v91, v88, vcc
	s_movk_i32 s8, 0x3000
	v_add_co_u32_e32 v112, vcc, s8, v118
	v_addc_co_u32_e32 v113, vcc, 0, v119, vcc
	v_mov_b32_e32 v94, s3
	v_add_co_u32_e32 v104, vcc, s2, v92
	v_addc_co_u32_e32 v105, vcc, v93, v94, vcc
	v_mov_b32_e32 v106, s3
	v_add_co_u32_e32 v114, vcc, s2, v104
	v_addc_co_u32_e32 v115, vcc, v105, v106, vcc
	global_load_dwordx4 v[88:91], v[92:93], off
	s_nop 0
	global_load_dwordx4 v[92:95], v[104:105], off
	global_load_dwordx4 v[96:99], v[112:113], off offset:912
	global_load_dwordx4 v[100:103], v[112:113], off offset:2112
	s_nop 0
	global_load_dwordx4 v[104:107], v[114:115], off
	global_load_dwordx4 v[108:111], v[112:113], off offset:3312
	v_mov_b32_e32 v112, s3
	v_add_co_u32_e32 v116, vcc, s2, v114
	v_addc_co_u32_e32 v117, vcc, v115, v112, vcc
	s_movk_i32 s8, 0x4000
	v_add_co_u32_e32 v132, vcc, s8, v118
	v_addc_co_u32_e32 v133, vcc, 0, v119, vcc
	v_mov_b32_e32 v118, s3
	v_add_co_u32_e32 v128, vcc, s2, v116
	v_addc_co_u32_e32 v129, vcc, v117, v118, vcc
	global_load_dwordx4 v[112:115], v[116:117], off
	s_nop 0
	global_load_dwordx4 v[116:119], v[128:129], off
	global_load_dwordx4 v[120:123], v[132:133], off offset:416
	global_load_dwordx4 v[124:127], v[132:133], off offset:1616
	v_mov_b32_e32 v130, s3
	v_add_co_u32_e32 v128, vcc, s2, v128
	v_addc_co_u32_e32 v129, vcc, v129, v130, vcc
	global_load_dwordx4 v[128:131], v[128:129], off
	s_nop 0
	global_load_dwordx4 v[132:135], v[132:133], off offset:2816
	s_waitcnt vmcnt(32)
	v_mul_f64 v[136:137], v[6:7], v[2:3]
	v_mul_f64 v[138:139], v[4:5], v[2:3]
	v_fma_f64 v[2:3], v[4:5], v[0:1], v[136:137]
	v_fma_f64 v[4:5], v[6:7], v[0:1], -v[138:139]
	v_lshl_add_u32 v6, v239, 4, v241
	s_waitcnt vmcnt(23)
	v_mul_f64 v[0:1], v[42:43], v[10:11]
	ds_write_b128 v6, v[2:5]
	v_mul_f64 v[2:3], v[40:41], v[10:11]
	s_waitcnt vmcnt(21)
	v_mul_f64 v[4:5], v[46:47], v[14:15]
	v_mul_f64 v[6:7], v[44:45], v[14:15]
	;; [unrolled: 1-line block ×4, first 2 shown]
	s_waitcnt vmcnt(20)
	v_mul_f64 v[18:19], v[54:55], v[22:23]
	v_mul_f64 v[22:23], v[52:53], v[22:23]
	v_fma_f64 v[0:1], v[40:41], v[8:9], v[0:1]
	v_fma_f64 v[2:3], v[42:43], v[8:9], -v[2:3]
	v_fma_f64 v[4:5], v[44:45], v[12:13], v[4:5]
	v_fma_f64 v[6:7], v[46:47], v[12:13], -v[6:7]
	;; [unrolled: 2-line block ×3, first 2 shown]
	v_fma_f64 v[12:13], v[52:53], v[20:21], v[18:19]
	s_waitcnt vmcnt(19)
	v_mul_f64 v[16:17], v[58:59], v[26:27]
	v_mul_f64 v[18:19], v[56:57], v[26:27]
	v_fma_f64 v[14:15], v[54:55], v[20:21], -v[22:23]
	s_waitcnt vmcnt(18)
	v_mul_f64 v[20:21], v[62:63], v[30:31]
	v_mul_f64 v[22:23], v[60:61], v[30:31]
	s_waitcnt vmcnt(17)
	v_mul_f64 v[26:27], v[66:67], v[34:35]
	v_mul_f64 v[30:31], v[64:65], v[34:35]
	s_waitcnt vmcnt(16)
	v_mul_f64 v[34:35], v[70:71], v[38:39]
	v_mul_f64 v[38:39], v[68:69], v[38:39]
	v_fma_f64 v[16:17], v[56:57], v[24:25], v[16:17]
	v_fma_f64 v[18:19], v[58:59], v[24:25], -v[18:19]
	v_fma_f64 v[20:21], v[60:61], v[28:29], v[20:21]
	v_fma_f64 v[22:23], v[62:63], v[28:29], -v[22:23]
	;; [unrolled: 2-line block ×3, first 2 shown]
	v_add_u32_e32 v40, v241, v237
	v_fma_f64 v[28:29], v[68:69], v[36:37], v[34:35]
	v_fma_f64 v[30:31], v[70:71], v[36:37], -v[38:39]
	ds_write_b128 v40, v[0:3] offset:1200
	ds_write_b128 v40, v[4:7] offset:2400
	;; [unrolled: 1-line block ×8, first 2 shown]
	s_waitcnt vmcnt(13)
	v_mul_f64 v[0:1], v[74:75], v[82:83]
	v_mul_f64 v[2:3], v[72:73], v[82:83]
	s_waitcnt vmcnt(12)
	v_mul_f64 v[4:5], v[78:79], v[86:87]
	v_mul_f64 v[6:7], v[76:77], v[86:87]
	;; [unrolled: 3-line block ×5, first 2 shown]
	v_fma_f64 v[0:1], v[72:73], v[80:81], v[0:1]
	v_fma_f64 v[2:3], v[74:75], v[80:81], -v[2:3]
	v_fma_f64 v[4:5], v[76:77], v[84:85], v[4:5]
	v_fma_f64 v[6:7], v[78:79], v[84:85], -v[6:7]
	;; [unrolled: 2-line block ×5, first 2 shown]
	s_waitcnt vmcnt(3)
	v_mul_f64 v[20:21], v[114:115], v[122:123]
	v_mul_f64 v[22:23], v[112:113], v[122:123]
	s_waitcnt vmcnt(2)
	v_mul_f64 v[24:25], v[118:119], v[126:127]
	v_mul_f64 v[26:27], v[116:117], v[126:127]
	s_waitcnt vmcnt(0)
	v_mul_f64 v[28:29], v[130:131], v[134:135]
	v_mul_f64 v[30:31], v[128:129], v[134:135]
	v_fma_f64 v[20:21], v[112:113], v[120:121], v[20:21]
	v_fma_f64 v[22:23], v[114:115], v[120:121], -v[22:23]
	v_fma_f64 v[24:25], v[116:117], v[124:125], v[24:25]
	v_fma_f64 v[26:27], v[118:119], v[124:125], -v[26:27]
	;; [unrolled: 2-line block ×3, first 2 shown]
	ds_write_b128 v40, v[0:3] offset:10800
	ds_write_b128 v40, v[4:7] offset:12000
	;; [unrolled: 1-line block ×8, first 2 shown]
.LBB0_3:
	s_or_b64 exec, exec, s[6:7]
	s_load_dwordx2 s[6:7], s[4:5], 0x20
	s_load_dwordx2 s[2:3], s[4:5], 0x8
	s_waitcnt lgkmcnt(0)
	s_barrier
	s_waitcnt lgkmcnt(0)
                                        ; implicit-def: $vgpr8_vgpr9
                                        ; implicit-def: $vgpr68_vgpr69
                                        ; implicit-def: $vgpr72_vgpr73
                                        ; implicit-def: $vgpr64_vgpr65
                                        ; implicit-def: $vgpr56_vgpr57
                                        ; implicit-def: $vgpr60_vgpr61
                                        ; implicit-def: $vgpr12_vgpr13
                                        ; implicit-def: $vgpr16_vgpr17
                                        ; implicit-def: $vgpr20_vgpr21
                                        ; implicit-def: $vgpr24_vgpr25
                                        ; implicit-def: $vgpr28_vgpr29
                                        ; implicit-def: $vgpr32_vgpr33
                                        ; implicit-def: $vgpr36_vgpr37
                                        ; implicit-def: $vgpr40_vgpr41
                                        ; implicit-def: $vgpr44_vgpr45
                                        ; implicit-def: $vgpr48_vgpr49
                                        ; implicit-def: $vgpr52_vgpr53
	s_and_saveexec_b64 s[4:5], s[0:1]
	s_cbranch_execz .LBB0_5
; %bb.4:
	v_lshl_add_u32 v0, v236, 4, v237
	ds_read_b128 v[8:11], v0
	ds_read_b128 v[68:71], v0 offset:1200
	ds_read_b128 v[72:75], v0 offset:2400
	ds_read_b128 v[64:67], v0 offset:3600
	ds_read_b128 v[56:59], v0 offset:4800
	ds_read_b128 v[60:63], v0 offset:6000
	ds_read_b128 v[12:15], v0 offset:7200
	ds_read_b128 v[16:19], v0 offset:8400
	ds_read_b128 v[20:23], v0 offset:9600
	ds_read_b128 v[24:27], v0 offset:10800
	ds_read_b128 v[28:31], v0 offset:12000
	ds_read_b128 v[32:35], v0 offset:13200
	ds_read_b128 v[36:39], v0 offset:14400
	ds_read_b128 v[40:43], v0 offset:15600
	ds_read_b128 v[44:47], v0 offset:16800
	ds_read_b128 v[48:51], v0 offset:18000
	ds_read_b128 v[52:55], v0 offset:19200
.LBB0_5:
	s_or_b64 exec, exec, s[4:5]
	s_waitcnt lgkmcnt(0)
	v_add_f64 v[164:165], v[70:71], -v[54:55]
	v_add_f64 v[148:149], v[68:69], -v[52:53]
	s_mov_b32 s18, 0x5d8e7cdc
	s_mov_b32 s19, 0xbfd71e95
	v_add_f64 v[120:121], v[68:69], v[52:53]
	v_add_f64 v[128:129], v[70:71], v[54:55]
	v_add_f64 v[182:183], v[74:75], -v[50:51]
	v_add_f64 v[160:161], v[72:73], -v[48:49]
	v_mul_f64 v[84:85], v[164:165], s[18:19]
	v_mul_f64 v[86:87], v[148:149], s[18:19]
	s_mov_b32 s4, 0x370991
	s_mov_b32 s24, 0x2a9d6da3
	;; [unrolled: 1-line block ×4, first 2 shown]
	v_mul_f64 v[88:89], v[164:165], s[24:25]
	v_mul_f64 v[136:137], v[148:149], s[24:25]
	v_fma_f64 v[0:1], v[120:121], s[4:5], v[84:85]
	v_fma_f64 v[2:3], v[128:129], s[4:5], -v[86:87]
	v_add_f64 v[130:131], v[72:73], v[48:49]
	v_add_f64 v[144:145], v[74:75], v[50:51]
	v_mul_f64 v[90:91], v[182:183], s[24:25]
	v_mul_f64 v[92:93], v[160:161], s[24:25]
	v_add_f64 v[196:197], v[66:67], -v[46:47]
	v_add_f64 v[180:181], v[64:65], -v[44:45]
	s_mov_b32 s8, 0x75d4884
	s_mov_b32 s16, 0xeb564b22
	;; [unrolled: 1-line block ×6, first 2 shown]
	v_fma_f64 v[4:5], v[120:121], s[8:9], v[88:89]
	v_fma_f64 v[6:7], v[128:129], s[8:9], -v[136:137]
	v_add_f64 v[0:1], v[8:9], v[0:1]
	v_add_f64 v[2:3], v[10:11], v[2:3]
	v_mul_f64 v[94:95], v[182:183], s[16:17]
	v_mul_f64 v[140:141], v[160:161], s[16:17]
	v_fma_f64 v[76:77], v[130:131], s[8:9], v[90:91]
	v_fma_f64 v[78:79], v[144:145], s[8:9], -v[92:93]
	v_add_f64 v[142:143], v[64:65], v[44:45]
	v_add_f64 v[152:153], v[66:67], v[46:47]
	v_mul_f64 v[117:118], v[196:197], s[38:39]
	v_mul_f64 v[96:97], v[180:181], s[38:39]
	v_add_f64 v[214:215], v[58:59], -v[42:43]
	v_add_f64 v[198:199], v[56:57], -v[40:41]
	s_mov_b32 s10, 0x3259b75e
	s_mov_b32 s20, 0x2b2883cd
	;; [unrolled: 1-line block ×6, first 2 shown]
	v_add_f64 v[4:5], v[8:9], v[4:5]
	v_add_f64 v[6:7], v[10:11], v[6:7]
	v_fma_f64 v[80:81], v[130:131], s[10:11], v[94:95]
	v_fma_f64 v[82:83], v[144:145], s[10:11], -v[140:141]
	v_add_f64 v[0:1], v[76:77], v[0:1]
	v_add_f64 v[2:3], v[78:79], v[2:3]
	v_mul_f64 v[126:127], v[196:197], s[40:41]
	v_mul_f64 v[156:157], v[180:181], s[40:41]
	v_fma_f64 v[76:77], v[142:143], s[20:21], v[117:118]
	v_fma_f64 v[78:79], v[152:153], s[20:21], -v[96:97]
	v_add_f64 v[172:173], v[56:57], v[40:41]
	v_add_f64 v[174:175], v[58:59], v[42:43]
	v_mul_f64 v[132:133], v[214:215], s[16:17]
	v_mul_f64 v[134:135], v[198:199], s[16:17]
	v_add_f64 v[230:231], v[62:63], -v[38:39]
	v_add_f64 v[208:209], v[60:61], -v[36:37]
	s_mov_b32 s26, 0x6ed5f1bb
	s_mov_b32 s44, 0xacd6c6b4
	;; [unrolled: 1-line block ×6, first 2 shown]
	v_add_f64 v[4:5], v[80:81], v[4:5]
	v_add_f64 v[6:7], v[82:83], v[6:7]
	v_fma_f64 v[80:81], v[142:143], s[26:27], v[126:127]
	v_fma_f64 v[82:83], v[152:153], s[26:27], -v[156:157]
	v_add_f64 v[0:1], v[76:77], v[0:1]
	v_add_f64 v[2:3], v[78:79], v[2:3]
	v_mul_f64 v[138:139], v[214:215], s[44:45]
	v_mul_f64 v[170:171], v[198:199], s[44:45]
	v_fma_f64 v[76:77], v[172:173], s[10:11], v[132:133]
	v_fma_f64 v[78:79], v[174:175], s[10:11], -v[134:135]
	v_add_f64 v[166:167], v[60:61], v[36:37]
	v_add_f64 v[188:189], v[62:63], v[38:39]
	v_mul_f64 v[146:147], v[230:231], s[46:47]
	v_mul_f64 v[150:151], v[208:209], s[46:47]
	s_mov_b32 s28, 0x7faef3
	s_mov_b32 s34, 0xc61f0d01
	;; [unrolled: 1-line block ×6, first 2 shown]
	v_add_f64 v[4:5], v[80:81], v[4:5]
	v_add_f64 v[6:7], v[82:83], v[6:7]
	v_fma_f64 v[80:81], v[172:173], s[28:29], v[138:139]
	v_fma_f64 v[82:83], v[174:175], s[28:29], -v[170:171]
	v_add_f64 v[0:1], v[76:77], v[0:1]
	v_add_f64 v[2:3], v[78:79], v[2:3]
	v_fma_f64 v[76:77], v[166:167], s[34:35], v[146:147]
	v_fma_f64 v[78:79], v[188:189], s[34:35], -v[150:151]
	v_add_f64 v[232:233], v[14:15], -v[34:35]
	v_add_f64 v[228:229], v[12:13], -v[32:33]
	v_mul_f64 v[162:163], v[230:231], s[36:37]
	v_mul_f64 v[202:203], v[208:209], s[36:37]
	s_mov_b32 s30, 0x910ea3b9
	s_mov_b32 s31, 0xbfeb34fa
	;; [unrolled: 1-line block ×4, first 2 shown]
	v_add_f64 v[4:5], v[80:81], v[4:5]
	v_add_f64 v[6:7], v[82:83], v[6:7]
	;; [unrolled: 1-line block ×4, first 2 shown]
	v_mul_f64 v[154:155], v[232:233], s[40:41]
	v_mul_f64 v[158:159], v[228:229], s[40:41]
	v_add_f64 v[0:1], v[76:77], v[0:1]
	v_add_f64 v[2:3], v[78:79], v[2:3]
	v_fma_f64 v[76:77], v[166:167], s[30:31], v[162:163]
	v_fma_f64 v[78:79], v[188:189], s[30:31], -v[202:203]
	v_mul_f64 v[168:169], v[232:233], s[48:49]
	v_mul_f64 v[200:201], v[228:229], s[48:49]
	v_add_f64 v[234:235], v[18:19], -v[30:31]
	v_add_f64 v[212:213], v[16:17], -v[28:29]
	s_mov_b32 s43, 0xbfe0d888
	s_mov_b32 s42, s36
	;; [unrolled: 1-line block ×4, first 2 shown]
	v_fma_f64 v[80:81], v[190:191], s[26:27], v[154:155]
	v_fma_f64 v[82:83], v[206:207], s[26:27], -v[158:159]
	v_add_f64 v[4:5], v[76:77], v[4:5]
	v_add_f64 v[6:7], v[78:79], v[6:7]
	v_fma_f64 v[76:77], v[190:191], s[34:35], v[168:169]
	v_fma_f64 v[78:79], v[206:207], s[34:35], -v[200:201]
	v_add_f64 v[204:205], v[16:17], v[28:29]
	v_add_f64 v[216:217], v[18:19], v[30:31]
	v_mul_f64 v[176:177], v[234:235], s[42:43]
	v_mul_f64 v[178:179], v[212:213], s[42:43]
	;; [unrolled: 1-line block ×4, first 2 shown]
	v_add_f64 v[224:225], v[22:23], -v[26:27]
	v_add_f64 v[220:221], v[20:21], -v[24:25]
	s_mov_b32 s51, 0x3fd71e95
	s_mov_b32 s50, s18
	v_add_f64 v[0:1], v[80:81], v[0:1]
	v_add_f64 v[2:3], v[82:83], v[2:3]
	;; [unrolled: 1-line block ×4, first 2 shown]
	v_fma_f64 v[76:77], v[204:205], s[30:31], v[176:177]
	v_fma_f64 v[78:79], v[216:217], s[30:31], -v[178:179]
	v_fma_f64 v[80:81], v[204:205], s[20:21], v[184:185]
	v_fma_f64 v[82:83], v[216:217], s[20:21], -v[210:211]
	v_add_f64 v[218:219], v[20:21], v[24:25]
	v_add_f64 v[226:227], v[22:23], v[26:27]
	v_mul_f64 v[186:187], v[224:225], s[44:45]
	v_mul_f64 v[192:193], v[220:221], s[44:45]
	;; [unrolled: 1-line block ×4, first 2 shown]
	v_add_f64 v[0:1], v[76:77], v[0:1]
	v_add_f64 v[2:3], v[78:79], v[2:3]
	;; [unrolled: 1-line block ×4, first 2 shown]
	v_fma_f64 v[76:77], v[218:219], s[28:29], v[186:187]
	v_fma_f64 v[78:79], v[226:227], s[28:29], -v[192:193]
	v_fma_f64 v[80:81], v[218:219], s[4:5], v[194:195]
	v_fma_f64 v[82:83], v[226:227], s[4:5], -v[222:223]
	s_barrier
	v_add_f64 v[243:244], v[76:77], v[0:1]
	v_add_f64 v[245:246], v[78:79], v[2:3]
	;; [unrolled: 1-line block ×4, first 2 shown]
	s_mov_b64 s[22:23], exec
	s_and_b64 s[54:55], s[22:23], s[0:1]
	buffer_store_dword v237, off, s[64:67], 0 ; 4-byte Folded Spill
	s_mov_b64 exec, s[54:55]
	s_cbranch_execz .LBB0_7
; %bb.6:
	v_mul_f64 v[0:1], v[128:129], s[28:29]
	s_mov_b32 s55, 0x3fc7851a
	s_mov_b32 s54, s44
	v_mul_f64 v[76:77], v[144:145], s[4:5]
	v_mul_f64 v[78:79], v[164:165], s[44:45]
	buffer_store_dword v84, off, s[64:67], 0 offset:36 ; 4-byte Folded Spill
	s_nop 0
	buffer_store_dword v85, off, s[64:67], 0 offset:40 ; 4-byte Folded Spill
	buffer_store_dword v86, off, s[64:67], 0 offset:84 ; 4-byte Folded Spill
	s_nop 0
	buffer_store_dword v87, off, s[64:67], 0 offset:88 ; 4-byte Folded Spill
	;; [unrolled: 3-line block ×3, first 2 shown]
	v_fma_f64 v[80:81], v[148:149], s[54:55], v[0:1]
	buffer_store_dword v90, off, s[64:67], 0 offset:20 ; 4-byte Folded Spill
	s_nop 0
	buffer_store_dword v91, off, s[64:67], 0 offset:24 ; 4-byte Folded Spill
	v_mul_f64 v[84:85], v[152:153], s[30:31]
	v_mul_f64 v[86:87], v[182:183], s[50:51]
	v_fma_f64 v[88:89], v[160:161], s[18:19], v[76:77]
	v_fma_f64 v[90:91], v[120:121], s[28:29], v[78:79]
	;; [unrolled: 1-line block ×3, first 2 shown]
	buffer_store_dword v92, off, s[64:67], 0 offset:68 ; 4-byte Folded Spill
	s_nop 0
	buffer_store_dword v93, off, s[64:67], 0 offset:72 ; 4-byte Folded Spill
	v_add_f64 v[80:81], v[10:11], v[80:81]
	buffer_store_dword v94, off, s[64:67], 0 offset:100 ; 4-byte Folded Spill
	s_nop 0
	buffer_store_dword v95, off, s[64:67], 0 offset:104 ; 4-byte Folded Spill
	buffer_store_dword v96, off, s[64:67], 0 offset:116 ; 4-byte Folded Spill
	s_nop 0
	buffer_store_dword v97, off, s[64:67], 0 offset:120 ; 4-byte Folded Spill
	v_mul_f64 v[92:93], v[174:175], s[8:9]
	v_mul_f64 v[94:95], v[196:197], s[42:43]
	v_fma_f64 v[96:97], v[180:181], s[36:37], v[84:85]
	v_fma_f64 v[98:99], v[130:131], s[4:5], v[86:87]
	v_add_f64 v[90:91], v[8:9], v[90:91]
	v_add_f64 v[80:81], v[88:89], v[80:81]
	v_fma_f64 v[76:77], v[160:161], s[50:51], v[76:77]
	v_add_f64 v[0:1], v[10:11], v[0:1]
	s_mov_b32 s57, 0x3fe58eea
	s_mov_b32 s56, s24
	v_mul_f64 v[82:83], v[188:189], s[26:27]
	v_mul_f64 v[88:89], v[214:215], s[56:57]
	v_fma_f64 v[100:101], v[198:199], s[24:25], v[92:93]
	v_fma_f64 v[102:103], v[142:143], s[30:31], v[94:95]
	v_add_f64 v[90:91], v[98:99], v[90:91]
	v_add_f64 v[80:81], v[96:97], v[80:81]
	v_fma_f64 v[84:85], v[180:181], s[42:43], v[84:85]
	v_add_f64 v[0:1], v[76:77], v[0:1]
	s_mov_b32 s61, 0x3fe9895b
	s_mov_b32 s60, s40
	v_mul_f64 v[6:7], v[206:207], s[20:21]
	v_mul_f64 v[96:97], v[230:231], s[40:41]
	v_fma_f64 v[76:77], v[208:209], s[60:61], v[82:83]
	v_fma_f64 v[98:99], v[172:173], s[8:9], v[88:89]
	v_add_f64 v[90:91], v[102:103], v[90:91]
	v_add_f64 v[80:81], v[100:101], v[80:81]
	v_fma_f64 v[92:93], v[198:199], s[56:57], v[92:93]
	v_add_f64 v[0:1], v[84:85], v[0:1]
	v_fma_f64 v[78:79], v[120:121], s[28:29], -v[78:79]
	v_mul_f64 v[4:5], v[216:217], s[34:35]
	v_mul_f64 v[102:103], v[232:233], s[52:53]
	v_fma_f64 v[84:85], v[228:229], s[38:39], v[6:7]
	v_fma_f64 v[104:105], v[166:167], s[26:27], v[96:97]
	v_add_f64 v[90:91], v[98:99], v[90:91]
	v_add_f64 v[76:77], v[76:77], v[80:81]
	v_fma_f64 v[82:83], v[208:209], s[40:41], v[82:83]
	v_add_f64 v[0:1], v[92:93], v[0:1]
	v_fma_f64 v[86:87], v[130:131], s[4:5], -v[86:87]
	v_add_f64 v[78:79], v[8:9], v[78:79]
	v_mul_f64 v[100:101], v[234:235], s[46:47]
	v_fma_f64 v[92:93], v[212:213], s[48:49], v[4:5]
	v_fma_f64 v[98:99], v[190:191], s[20:21], v[102:103]
	v_add_f64 v[90:91], v[104:105], v[90:91]
	v_add_f64 v[76:77], v[84:85], v[76:77]
	v_fma_f64 v[6:7], v[228:229], s[52:53], v[6:7]
	v_add_f64 v[0:1], v[82:83], v[0:1]
	v_fma_f64 v[82:83], v[142:143], s[30:31], -v[94:95]
	v_add_f64 v[78:79], v[86:87], v[78:79]
	v_mul_f64 v[2:3], v[226:227], s[10:11]
	v_fma_f64 v[86:87], v[204:205], s[34:35], v[100:101]
	v_add_f64 v[90:91], v[98:99], v[90:91]
	v_fma_f64 v[4:5], v[212:213], s[46:47], v[4:5]
	s_mov_b32 s59, 0x3fefdd0d
	v_add_f64 v[0:1], v[6:7], v[0:1]
	v_add_f64 v[6:7], v[92:93], v[76:77]
	v_fma_f64 v[76:77], v[172:173], s[8:9], -v[88:89]
	v_add_f64 v[78:79], v[82:83], v[78:79]
	s_mov_b32 s58, s16
	v_fma_f64 v[80:81], v[220:221], s[16:17], v[2:3]
	v_mul_f64 v[84:85], v[224:225], s[58:59]
	v_mul_f64 v[88:89], v[128:129], s[30:31]
	v_add_f64 v[86:87], v[86:87], v[90:91]
	v_add_f64 v[0:1], v[4:5], v[0:1]
	v_mul_f64 v[4:5], v[164:165], s[42:43]
	v_fma_f64 v[90:91], v[166:167], s[26:27], -v[96:97]
	v_add_f64 v[76:77], v[76:77], v[78:79]
	v_mul_f64 v[92:93], v[144:145], s[20:21]
	v_fma_f64 v[82:83], v[218:219], s[10:11], v[84:85]
	v_fma_f64 v[94:95], v[148:149], s[36:37], v[88:89]
	v_add_f64 v[78:79], v[80:81], v[6:7]
	v_mul_f64 v[96:97], v[182:183], s[52:53]
	v_fma_f64 v[80:81], v[120:121], s[30:31], v[4:5]
	v_fma_f64 v[98:99], v[190:191], s[20:21], -v[102:103]
	v_add_f64 v[90:91], v[90:91], v[76:77]
	v_mul_f64 v[6:7], v[152:153], s[10:11]
	v_fma_f64 v[102:103], v[160:161], s[38:39], v[92:93]
	v_add_f64 v[94:95], v[10:11], v[94:95]
	v_add_f64 v[76:77], v[82:83], v[86:87]
	v_mul_f64 v[86:87], v[196:197], s[16:17]
	v_fma_f64 v[82:83], v[130:131], s[20:21], v[96:97]
	v_add_f64 v[80:81], v[8:9], v[80:81]
	v_fma_f64 v[100:101], v[204:205], s[34:35], -v[100:101]
	v_add_f64 v[90:91], v[98:99], v[90:91]
	v_fma_f64 v[2:3], v[220:221], s[58:59], v[2:3]
	v_fma_f64 v[98:99], v[180:181], s[58:59], v[6:7]
	v_add_f64 v[94:95], v[102:103], v[94:95]
	v_mul_f64 v[102:103], v[174:175], s[26:27]
	v_fma_f64 v[84:85], v[218:219], s[10:11], -v[84:85]
	v_fma_f64 v[104:105], v[142:143], s[10:11], v[86:87]
	v_add_f64 v[80:81], v[82:83], v[80:81]
	v_mul_f64 v[106:107], v[214:215], s[60:61]
	v_add_f64 v[90:91], v[100:101], v[90:91]
	v_mul_f64 v[100:101], v[188:189], s[4:5]
	v_add_f64 v[94:95], v[98:99], v[94:95]
	v_fma_f64 v[98:99], v[198:199], s[40:41], v[102:103]
	v_add_f64 v[82:83], v[2:3], v[0:1]
	v_fma_f64 v[0:1], v[148:149], s[42:43], v[88:89]
	;; [unrolled: 2-line block ×3, first 2 shown]
	v_add_f64 v[80:81], v[84:85], v[90:91]
	v_mul_f64 v[84:85], v[230:231], s[18:19]
	v_fma_f64 v[90:91], v[208:209], s[50:51], v[100:101]
	v_add_f64 v[94:95], v[98:99], v[94:95]
	v_mul_f64 v[98:99], v[206:207], s[28:29]
	v_fma_f64 v[4:5], v[120:121], s[30:31], -v[4:5]
	v_fma_f64 v[92:93], v[160:161], s[52:53], v[92:93]
	v_add_f64 v[0:1], v[10:11], v[0:1]
	v_add_f64 v[2:3], v[88:89], v[2:3]
	v_fma_f64 v[88:89], v[166:167], s[4:5], v[84:85]
	v_fma_f64 v[6:7], v[180:181], s[16:17], v[6:7]
	v_add_f64 v[90:91], v[90:91], v[94:95]
	v_fma_f64 v[94:95], v[130:131], s[20:21], -v[96:97]
	v_add_f64 v[4:5], v[8:9], v[4:5]
	v_mul_f64 v[96:97], v[232:233], s[44:45]
	v_add_f64 v[0:1], v[92:93], v[0:1]
	v_fma_f64 v[92:93], v[228:229], s[54:55], v[98:99]
	v_add_f64 v[2:3], v[88:89], v[2:3]
	v_mul_f64 v[88:89], v[216:217], s[8:9]
	v_fma_f64 v[86:87], v[142:143], s[10:11], -v[86:87]
	v_fma_f64 v[102:103], v[198:199], s[60:61], v[102:103]
	v_add_f64 v[4:5], v[94:95], v[4:5]
	v_fma_f64 v[94:95], v[190:191], s[28:29], v[96:97]
	v_add_f64 v[0:1], v[6:7], v[0:1]
	v_add_f64 v[90:91], v[92:93], v[90:91]
	v_mul_f64 v[6:7], v[234:235], s[56:57]
	v_fma_f64 v[92:93], v[212:213], s[24:25], v[88:89]
	v_mul_f64 v[104:105], v[224:225], s[46:47]
	v_fma_f64 v[100:101], v[208:209], s[18:19], v[100:101]
	v_add_f64 v[4:5], v[86:87], v[4:5]
	v_add_f64 v[2:3], v[94:95], v[2:3]
	v_mul_f64 v[94:95], v[226:227], s[34:35]
	v_fma_f64 v[86:87], v[172:173], s[26:27], -v[106:107]
	v_add_f64 v[0:1], v[102:103], v[0:1]
	v_add_f64 v[90:91], v[92:93], v[90:91]
	v_fma_f64 v[92:93], v[204:205], s[8:9], v[6:7]
	v_fma_f64 v[84:85], v[166:167], s[4:5], -v[84:85]
	v_fma_f64 v[106:107], v[218:219], s[34:35], v[104:105]
	v_mov_b32_e32 v116, v238
	v_fma_f64 v[102:103], v[220:221], s[48:49], v[94:95]
	v_add_f64 v[4:5], v[86:87], v[4:5]
	v_mul_f64 v[237:238], v[128:129], s[26:27]
	v_add_f64 v[0:1], v[100:101], v[0:1]
	v_add_f64 v[2:3], v[92:93], v[2:3]
	v_fma_f64 v[92:93], v[228:229], s[44:45], v[98:99]
	v_fma_f64 v[96:97], v[190:191], s[28:29], -v[96:97]
	v_fma_f64 v[88:89], v[212:213], s[56:57], v[88:89]
	v_add_f64 v[86:87], v[102:103], v[90:91]
	v_add_f64 v[4:5], v[84:85], v[4:5]
	v_fma_f64 v[90:91], v[148:149], s[60:61], v[237:238]
	v_fma_f64 v[6:7], v[204:205], s[8:9], -v[6:7]
	v_add_f64 v[84:85], v[106:107], v[2:3]
	v_mul_f64 v[2:3], v[144:145], s[34:35]
	v_add_f64 v[0:1], v[92:93], v[0:1]
	v_mul_f64 v[98:99], v[152:153], s[4:5]
	v_fma_f64 v[94:95], v[220:221], s[46:47], v[94:95]
	v_add_f64 v[4:5], v[96:97], v[4:5]
	v_mul_f64 v[96:97], v[164:165], s[40:41]
	v_add_f64 v[90:91], v[10:11], v[90:91]
	v_mul_f64 v[106:107], v[206:207], s[8:9]
	v_fma_f64 v[92:93], v[160:161], s[46:47], v[2:3]
	v_add_f64 v[0:1], v[88:89], v[0:1]
	v_fma_f64 v[88:89], v[218:219], s[34:35], -v[104:105]
	v_fma_f64 v[102:103], v[180:181], s[50:51], v[98:99]
	v_add_f64 v[4:5], v[6:7], v[4:5]
	v_mul_f64 v[6:7], v[182:183], s[48:49]
	v_fma_f64 v[100:101], v[120:121], s[26:27], v[96:97]
	v_mul_f64 v[104:105], v[174:175], s[30:31]
	v_add_f64 v[92:93], v[92:93], v[90:91]
	v_add_f64 v[90:91], v[94:95], v[0:1]
	v_mul_f64 v[0:1], v[196:197], s[18:19]
	v_mov_b32_e32 v255, v239
	v_add_f64 v[88:89], v[88:89], v[4:5]
	v_fma_f64 v[4:5], v[130:131], s[34:35], v[6:7]
	v_add_f64 v[94:95], v[8:9], v[100:101]
	v_fma_f64 v[100:101], v[198:199], s[36:37], v[104:105]
	v_add_f64 v[92:93], v[102:103], v[92:93]
	v_mul_f64 v[102:103], v[214:215], s[42:43]
	v_mul_f64 v[239:240], v[230:231], s[58:59]
	v_mov_b32_e32 v119, v241
	v_mul_f64 v[241:242], v[216:217], s[28:29]
	buffer_store_dword v243, off, s[64:67], 0 offset:4 ; 4-byte Folded Spill
	s_nop 0
	buffer_store_dword v244, off, s[64:67], 0 offset:8 ; 4-byte Folded Spill
	buffer_store_dword v245, off, s[64:67], 0 offset:12 ; 4-byte Folded Spill
	;; [unrolled: 1-line block ×3, first 2 shown]
	v_add_f64 v[4:5], v[4:5], v[94:95]
	v_fma_f64 v[94:95], v[142:143], s[4:5], v[0:1]
	v_add_f64 v[92:93], v[100:101], v[92:93]
	v_mul_f64 v[100:101], v[188:189], s[10:11]
	v_mul_f64 v[243:244], v[232:233], s[24:25]
	;; [unrolled: 1-line block ×3, first 2 shown]
	v_mov_b32_e32 v122, v247
	v_mov_b32_e32 v123, v248
	v_mov_b32_e32 v124, v249
	v_add_f64 v[4:5], v[94:95], v[4:5]
	v_mov_b32_e32 v125, v250
	v_fma_f64 v[94:95], v[208:209], s[16:17], v[100:101]
	v_mul_f64 v[247:248], v[226:227], s[20:21]
	v_mul_f64 v[249:250], v[224:225], s[52:53]
	v_fma_f64 v[2:3], v[160:161], s[48:49], v[2:3]
	v_fma_f64 v[6:7], v[130:131], s[34:35], -v[6:7]
	v_fma_f64 v[0:1], v[142:143], s[4:5], -v[0:1]
	v_mul_f64 v[251:252], v[232:233], s[58:59]
	v_mul_f64 v[253:254], v[234:235], s[18:19]
	v_add_f64 v[92:93], v[94:95], v[92:93]
	v_fma_f64 v[94:95], v[172:173], s[30:31], v[102:103]
	v_mul_f64 v[108:109], v[226:227], s[26:27]
	v_mul_f64 v[112:113], v[226:227], s[8:9]
	;; [unrolled: 1-line block ×3, first 2 shown]
	v_add_f64 v[4:5], v[94:95], v[4:5]
	v_fma_f64 v[94:95], v[228:229], s[56:57], v[106:107]
	v_add_f64 v[92:93], v[94:95], v[92:93]
	v_fma_f64 v[94:95], v[166:167], s[10:11], v[239:240]
	;; [unrolled: 2-line block ×8, first 2 shown]
	v_mul_f64 v[237:238], v[174:175], s[20:21]
	v_add_f64 v[4:5], v[10:11], v[4:5]
	v_add_f64 v[2:3], v[2:3], v[4:5]
	v_fma_f64 v[4:5], v[180:181], s[18:19], v[98:99]
	v_fma_f64 v[98:99], v[220:221], s[52:53], v[247:248]
	v_mul_f64 v[247:248], v[214:215], s[38:39]
	v_add_f64 v[2:3], v[4:5], v[2:3]
	v_fma_f64 v[4:5], v[198:199], s[42:43], v[104:105]
	v_mul_f64 v[104:105], v[144:145], s[30:31]
	v_add_f64 v[2:3], v[4:5], v[2:3]
	v_fma_f64 v[4:5], v[208:209], s[58:59], v[100:101]
	v_fma_f64 v[100:101], v[218:219], s[20:21], -v[249:250]
	v_mul_f64 v[249:250], v[230:231], s[44:45]
	v_add_f64 v[2:3], v[4:5], v[2:3]
	v_fma_f64 v[4:5], v[228:229], s[24:25], v[106:107]
	v_mul_f64 v[106:107], v[152:153], s[8:9]
	v_add_f64 v[2:3], v[4:5], v[2:3]
	v_fma_f64 v[4:5], v[120:121], s[26:27], -v[96:97]
	v_fma_f64 v[96:97], v[160:161], s[42:43], v[104:105]
	v_fma_f64 v[104:105], v[160:161], s[36:37], v[104:105]
	v_add_f64 v[4:5], v[8:9], v[4:5]
	v_add_f64 v[4:5], v[6:7], v[4:5]
	v_fma_f64 v[6:7], v[212:213], s[44:45], v[241:242]
	v_mul_f64 v[241:242], v[164:165], s[46:47]
	v_add_f64 v[0:1], v[0:1], v[4:5]
	v_add_f64 v[2:3], v[6:7], v[2:3]
	v_fma_f64 v[6:7], v[172:173], s[30:31], -v[102:103]
	v_mul_f64 v[4:5], v[128:129], s[34:35]
	v_add_f64 v[98:99], v[98:99], v[2:3]
	v_add_f64 v[0:1], v[6:7], v[0:1]
	v_fma_f64 v[6:7], v[148:149], s[48:49], v[4:5]
	v_mul_f64 v[2:3], v[188:189], s[28:29]
	v_fma_f64 v[4:5], v[148:149], s[46:47], v[4:5]
	v_add_f64 v[6:7], v[10:11], v[6:7]
	v_add_f64 v[4:5], v[10:11], v[4:5]
	;; [unrolled: 1-line block ×3, first 2 shown]
	v_fma_f64 v[96:97], v[166:167], s[10:11], -v[239:240]
	v_mul_f64 v[239:240], v[216:217], s[4:5]
	v_add_f64 v[4:5], v[104:105], v[4:5]
	v_fma_f64 v[104:105], v[180:181], s[56:57], v[106:107]
	v_add_f64 v[0:1], v[96:97], v[0:1]
	v_fma_f64 v[96:97], v[180:181], s[24:25], v[106:107]
	v_add_f64 v[4:5], v[104:105], v[4:5]
	v_fma_f64 v[104:105], v[120:121], s[34:35], -v[241:242]
	v_add_f64 v[6:7], v[96:97], v[6:7]
	v_fma_f64 v[96:97], v[190:191], s[8:9], -v[243:244]
	v_mul_f64 v[243:244], v[182:183], s[36:37]
	v_add_f64 v[104:105], v[8:9], v[104:105]
	v_add_f64 v[0:1], v[96:97], v[0:1]
	v_fma_f64 v[96:97], v[204:205], s[28:29], -v[245:246]
	v_fma_f64 v[102:103], v[130:131], s[30:31], v[243:244]
	v_mul_f64 v[245:246], v[196:197], s[56:57]
	v_fma_f64 v[106:107], v[130:131], s[30:31], -v[243:244]
	v_add_f64 v[0:1], v[96:97], v[0:1]
	v_add_f64 v[104:105], v[106:107], v[104:105]
	v_fma_f64 v[106:107], v[142:143], s[8:9], -v[245:246]
	v_add_f64 v[96:97], v[100:101], v[0:1]
	v_fma_f64 v[0:1], v[198:199], s[52:53], v[237:238]
	v_add_f64 v[104:105], v[106:107], v[104:105]
	v_fma_f64 v[106:107], v[198:199], s[38:39], v[237:238]
	v_mul_f64 v[237:238], v[216:217], s[26:27]
	v_add_f64 v[0:1], v[0:1], v[6:7]
	v_fma_f64 v[6:7], v[208:209], s[54:55], v[2:3]
	v_fma_f64 v[2:3], v[208:209], s[44:45], v[2:3]
	v_add_f64 v[4:5], v[106:107], v[4:5]
	v_fma_f64 v[106:107], v[172:173], s[20:21], -v[247:248]
	v_add_f64 v[0:1], v[6:7], v[0:1]
	v_mul_f64 v[6:7], v[206:207], s[10:11]
	v_add_f64 v[2:3], v[2:3], v[4:5]
	v_add_f64 v[104:105], v[106:107], v[104:105]
	v_fma_f64 v[4:5], v[166:167], s[28:29], -v[249:250]
	v_fma_f64 v[100:101], v[228:229], s[16:17], v[6:7]
	v_fma_f64 v[6:7], v[228:229], s[58:59], v[6:7]
	v_add_f64 v[4:5], v[4:5], v[104:105]
	v_fma_f64 v[104:105], v[220:221], s[40:41], v[108:109]
	v_add_f64 v[0:1], v[100:101], v[0:1]
	;; [unrolled: 2-line block ×3, first 2 shown]
	v_fma_f64 v[6:7], v[190:191], s[10:11], -v[251:252]
	v_add_f64 v[0:1], v[100:101], v[0:1]
	v_fma_f64 v[100:101], v[120:121], s[34:35], v[241:242]
	v_add_f64 v[4:5], v[6:7], v[4:5]
	v_fma_f64 v[6:7], v[212:213], s[18:19], v[239:240]
	v_mul_f64 v[239:240], v[164:165], s[16:17]
	v_mul_f64 v[241:242], v[182:183], s[44:45]
	v_add_f64 v[100:101], v[8:9], v[100:101]
	v_add_f64 v[2:3], v[6:7], v[2:3]
	v_fma_f64 v[6:7], v[204:205], s[4:5], -v[253:254]
	v_fma_f64 v[243:244], v[130:131], s[28:29], v[241:242]
	v_add_f64 v[100:101], v[102:103], v[100:101]
	v_fma_f64 v[102:103], v[142:143], s[8:9], v[245:246]
	v_add_f64 v[106:107], v[104:105], v[2:3]
	v_add_f64 v[4:5], v[6:7], v[4:5]
	v_mul_f64 v[6:7], v[128:129], s[10:11]
	v_add_f64 v[2:3], v[8:9], v[68:69]
	v_add_f64 v[100:101], v[102:103], v[100:101]
	v_fma_f64 v[102:103], v[172:173], s[20:21], v[247:248]
	v_fma_f64 v[68:69], v[148:149], s[58:59], v[6:7]
	v_add_f64 v[72:73], v[2:3], v[72:73]
	v_fma_f64 v[6:7], v[148:149], s[16:17], v[6:7]
	v_add_f64 v[100:101], v[102:103], v[100:101]
	v_fma_f64 v[102:103], v[166:167], s[28:29], v[249:250]
	v_add_f64 v[2:3], v[10:11], v[68:69]
	v_mul_f64 v[68:69], v[152:153], s[34:35]
	v_add_f64 v[6:7], v[10:11], v[6:7]
	v_add_f64 v[64:65], v[72:73], v[64:65]
	v_fma_f64 v[72:73], v[218:219], s[8:9], -v[114:115]
	v_add_f64 v[100:101], v[102:103], v[100:101]
	v_fma_f64 v[102:103], v[190:191], s[10:11], v[251:252]
	v_add_f64 v[56:57], v[64:65], v[56:57]
	v_mul_f64 v[64:65], v[182:183], s[40:41]
	v_mul_f64 v[182:183], v[234:235], s[16:17]
	v_add_f64 v[100:101], v[102:103], v[100:101]
	v_fma_f64 v[102:103], v[204:205], s[4:5], v[253:254]
	v_add_f64 v[56:57], v[56:57], v[60:61]
	v_fma_f64 v[60:61], v[130:131], s[26:27], v[64:65]
	v_fma_f64 v[64:65], v[130:131], s[26:27], -v[64:65]
	v_add_f64 v[100:101], v[102:103], v[100:101]
	v_fma_f64 v[102:103], v[220:221], s[60:61], v[108:109]
	v_mul_f64 v[108:109], v[188:189], s[20:21]
	v_add_f64 v[12:13], v[56:57], v[12:13]
	v_add_f64 v[102:103], v[102:103], v[0:1]
	v_mul_f64 v[0:1], v[224:225], s[40:41]
	v_add_f64 v[12:13], v[12:13], v[16:17]
	v_fma_f64 v[16:17], v[204:205], s[10:11], -v[182:183]
	v_fma_f64 v[110:111], v[218:219], s[26:27], v[0:1]
	v_fma_f64 v[0:1], v[218:219], s[26:27], -v[0:1]
	v_add_f64 v[12:13], v[12:13], v[20:21]
	v_add_f64 v[100:101], v[110:111], v[100:101]
	;; [unrolled: 1-line block ×4, first 2 shown]
	v_mul_f64 v[4:5], v[144:145], s[28:29]
	v_mul_f64 v[110:111], v[206:207], s[30:31]
	v_add_f64 v[12:13], v[12:13], v[24:25]
	v_add_f64 v[70:71], v[0:1], v[74:75]
	v_fma_f64 v[0:1], v[160:161], s[54:55], v[4:5]
	v_mul_f64 v[74:75], v[174:175], s[4:5]
	v_fma_f64 v[4:5], v[160:161], s[44:45], v[4:5]
	v_add_f64 v[12:13], v[12:13], v[28:29]
	v_add_f64 v[66:67], v[70:71], v[66:67]
	;; [unrolled: 1-line block ×3, first 2 shown]
	v_fma_f64 v[2:3], v[180:181], s[46:47], v[68:69]
	v_add_f64 v[4:5], v[4:5], v[6:7]
	v_fma_f64 v[6:7], v[180:181], s[48:49], v[68:69]
	v_fma_f64 v[68:69], v[130:131], s[28:29], -v[241:242]
	v_fma_f64 v[70:71], v[220:221], s[56:57], v[112:113]
	v_add_f64 v[12:13], v[12:13], v[32:33]
	v_add_f64 v[58:59], v[66:67], v[58:59]
	v_mov_b32_e32 v241, v119
	v_add_f64 v[0:1], v[2:3], v[0:1]
	v_fma_f64 v[2:3], v[198:199], s[18:19], v[74:75]
	v_add_f64 v[4:5], v[6:7], v[4:5]
	v_fma_f64 v[6:7], v[198:199], s[50:51], v[74:75]
	v_mul_f64 v[74:75], v[128:129], s[20:21]
	v_add_f64 v[12:13], v[12:13], v[36:37]
	v_add_f64 v[58:59], v[58:59], v[62:63]
	;; [unrolled: 1-line block ×3, first 2 shown]
	v_fma_f64 v[2:3], v[208:209], s[52:53], v[108:109]
	v_add_f64 v[4:5], v[6:7], v[4:5]
	v_fma_f64 v[6:7], v[208:209], s[38:39], v[108:109]
	v_mul_f64 v[108:109], v[164:165], s[38:39]
	v_add_f64 v[14:15], v[58:59], v[14:15]
	v_add_f64 v[12:13], v[12:13], v[40:41]
	;; [unrolled: 1-line block ×3, first 2 shown]
	v_fma_f64 v[2:3], v[228:229], s[36:37], v[110:111]
	v_add_f64 v[4:5], v[6:7], v[4:5]
	v_fma_f64 v[6:7], v[228:229], s[42:43], v[110:111]
	v_fma_f64 v[66:67], v[120:121], s[20:21], v[108:109]
	v_fma_f64 v[108:109], v[120:121], s[20:21], -v[108:109]
	v_mul_f64 v[110:111], v[196:197], s[54:55]
	v_add_f64 v[14:15], v[14:15], v[18:19]
	v_add_f64 v[12:13], v[12:13], v[44:45]
	v_add_f64 v[0:1], v[2:3], v[0:1]
	v_fma_f64 v[2:3], v[212:213], s[40:41], v[237:238]
	v_add_f64 v[4:5], v[6:7], v[4:5]
	v_fma_f64 v[6:7], v[212:213], s[60:61], v[237:238]
	v_add_f64 v[62:63], v[8:9], v[66:67]
	v_add_f64 v[108:109], v[8:9], v[108:109]
	v_mul_f64 v[66:67], v[152:153], s[28:29]
	buffer_load_dword v237, off, s[64:67], 0 ; 4-byte Folded Reload
	v_add_f64 v[14:15], v[14:15], v[22:23]
	v_add_f64 v[0:1], v[2:3], v[0:1]
	v_fma_f64 v[2:3], v[120:121], s[10:11], v[239:240]
	v_add_f64 v[4:5], v[6:7], v[4:5]
	v_fma_f64 v[6:7], v[120:121], s[10:11], -v[239:240]
	v_add_f64 v[60:61], v[60:61], v[62:63]
	v_add_f64 v[64:65], v[64:65], v[108:109]
	v_fma_f64 v[62:63], v[180:181], s[44:45], v[66:67]
	v_fma_f64 v[66:67], v[180:181], s[54:55], v[66:67]
	v_mul_f64 v[180:181], v[232:233], s[18:19]
	v_add_f64 v[2:3], v[8:9], v[2:3]
	v_add_f64 v[14:15], v[14:15], v[26:27]
	;; [unrolled: 1-line block ×3, first 2 shown]
	v_mul_f64 v[108:109], v[190:191], s[26:27]
	v_add_f64 v[12:13], v[12:13], v[48:49]
	v_mov_b32_e32 v239, v255
	v_mov_b32_e32 v238, v116
	v_fma_f64 v[58:59], v[190:191], s[4:5], -v[180:181]
	v_add_f64 v[2:3], v[243:244], v[2:3]
	v_mul_f64 v[243:244], v[196:197], s[48:49]
	v_add_f64 v[6:7], v[68:69], v[6:7]
	v_mul_f64 v[196:197], v[120:121], s[4:5]
	v_add_f64 v[14:15], v[14:15], v[30:31]
	v_fma_f64 v[245:246], v[142:143], s[34:35], v[243:244]
	v_fma_f64 v[68:69], v[142:143], s[34:35], -v[243:244]
	v_add_f64 v[14:15], v[14:15], v[34:35]
	v_add_f64 v[2:3], v[245:246], v[2:3]
	v_mul_f64 v[245:246], v[214:215], s[50:51]
	v_add_f64 v[6:7], v[68:69], v[6:7]
	v_add_f64 v[14:15], v[14:15], v[38:39]
	v_fma_f64 v[247:248], v[172:173], s[4:5], v[245:246]
	v_fma_f64 v[68:69], v[172:173], s[4:5], -v[245:246]
	buffer_load_dword v243, off, s[64:67], 0 offset:4 ; 4-byte Folded Reload
	buffer_load_dword v244, off, s[64:67], 0 offset:8 ; 4-byte Folded Reload
	;; [unrolled: 1-line block ×4, first 2 shown]
	v_add_f64 v[14:15], v[14:15], v[42:43]
	v_add_f64 v[2:3], v[247:248], v[2:3]
	v_mul_f64 v[247:248], v[230:231], s[38:39]
	v_add_f64 v[6:7], v[68:69], v[6:7]
	v_add_f64 v[14:15], v[14:15], v[46:47]
	v_fma_f64 v[249:250], v[166:167], s[20:21], v[247:248]
	v_fma_f64 v[68:69], v[166:167], s[20:21], -v[247:248]
	v_add_f64 v[34:35], v[14:15], v[50:51]
	v_add_f64 v[2:3], v[249:250], v[2:3]
	v_mul_f64 v[249:250], v[232:233], s[42:43]
	v_add_f64 v[6:7], v[68:69], v[6:7]
	v_fma_f64 v[251:252], v[190:191], s[30:31], v[249:250]
	v_fma_f64 v[68:69], v[190:191], s[30:31], -v[249:250]
	v_mov_b32_e32 v250, v125
	v_mov_b32_e32 v249, v124
	;; [unrolled: 1-line block ×4, first 2 shown]
	v_add_f64 v[2:3], v[251:252], v[2:3]
	v_mul_f64 v[251:252], v[234:235], s[60:61]
	v_add_f64 v[6:7], v[68:69], v[6:7]
	v_fma_f64 v[253:254], v[204:205], s[26:27], v[251:252]
	v_fma_f64 v[68:69], v[204:205], s[26:27], -v[251:252]
	v_add_f64 v[253:254], v[253:254], v[2:3]
	v_fma_f64 v[2:3], v[220:221], s[24:25], v[112:113]
	v_add_f64 v[68:69], v[68:69], v[6:7]
	v_add_f64 v[6:7], v[70:71], v[4:5]
	v_fma_f64 v[112:113], v[142:143], s[28:29], v[110:111]
	v_fma_f64 v[110:111], v[142:143], s[28:29], -v[110:111]
	v_fma_f64 v[70:71], v[148:149], s[52:53], v[74:75]
	v_fma_f64 v[74:75], v[148:149], s[38:39], v[74:75]
	v_mul_f64 v[148:149], v[188:189], s[8:9]
	v_add_f64 v[2:3], v[2:3], v[0:1]
	v_fma_f64 v[0:1], v[218:219], s[8:9], v[114:115]
	v_add_f64 v[4:5], v[72:73], v[68:69]
	v_mul_f64 v[68:69], v[144:145], s[26:27]
	v_mul_f64 v[114:115], v[214:215], s[48:49]
	v_add_f64 v[60:61], v[112:113], v[60:61]
	v_add_f64 v[64:65], v[110:111], v[64:65]
	;; [unrolled: 1-line block ×4, first 2 shown]
	v_mul_f64 v[214:215], v[216:217], s[20:21]
	v_mul_f64 v[110:111], v[216:217], s[30:31]
	v_fma_f64 v[72:73], v[160:161], s[60:61], v[68:69]
	v_fma_f64 v[112:113], v[172:173], s[34:35], v[114:115]
	;; [unrolled: 1-line block ×3, first 2 shown]
	v_mul_f64 v[160:161], v[230:231], s[56:57]
	v_fma_f64 v[114:115], v[172:173], s[34:35], -v[114:115]
	v_add_f64 v[0:1], v[0:1], v[253:254]
	v_add_f64 v[70:71], v[72:73], v[70:71]
	v_mul_f64 v[72:73], v[174:175], s[34:35]
	v_add_f64 v[60:61], v[112:113], v[60:61]
	v_fma_f64 v[164:165], v[166:167], s[8:9], v[160:161]
	v_fma_f64 v[160:161], v[166:167], s[8:9], -v[160:161]
	v_add_f64 v[64:65], v[114:115], v[64:65]
	v_fma_f64 v[112:113], v[208:209], s[24:25], v[148:149]
	v_add_f64 v[68:69], v[68:69], v[74:75]
	v_add_f64 v[62:63], v[62:63], v[70:71]
	v_fma_f64 v[70:71], v[198:199], s[46:47], v[72:73]
	v_mul_f64 v[74:75], v[216:217], s[10:11]
	v_fma_f64 v[72:73], v[198:199], s[48:49], v[72:73]
	v_fma_f64 v[148:149], v[208:209], s[56:57], v[148:149]
	v_add_f64 v[64:65], v[160:161], v[64:65]
	v_add_f64 v[60:61], v[164:165], v[60:61]
	v_add_f64 v[66:67], v[66:67], v[68:69]
	v_mul_f64 v[68:69], v[128:129], s[4:5]
	v_add_f64 v[62:63], v[70:71], v[62:63]
	v_mul_f64 v[70:71], v[206:207], s[4:5]
	v_mul_f64 v[128:129], v[128:129], s[8:9]
	v_fma_f64 v[164:165], v[190:191], s[4:5], v[180:181]
	v_add_f64 v[18:19], v[58:59], v[64:65]
	buffer_load_dword v64, off, s[64:67], 0 offset:84 ; 4-byte Folded Reload
	buffer_load_dword v65, off, s[64:67], 0 offset:88 ; 4-byte Folded Reload
	v_add_f64 v[66:67], v[72:73], v[66:67]
	buffer_load_dword v20, off, s[64:67], 0 offset:36 ; 4-byte Folded Reload
	buffer_load_dword v21, off, s[64:67], 0 offset:40 ; 4-byte Folded Reload
	v_add_f64 v[62:63], v[112:113], v[62:63]
	v_fma_f64 v[112:113], v[228:229], s[50:51], v[70:71]
	v_add_f64 v[128:129], v[136:137], v[128:129]
	v_fma_f64 v[70:71], v[228:229], s[18:19], v[70:71]
	buffer_load_dword v22, off, s[64:67], 0 offset:52 ; 4-byte Folded Reload
	buffer_load_dword v23, off, s[64:67], 0 offset:56 ; 4-byte Folded Reload
	v_add_f64 v[60:61], v[164:165], v[60:61]
	v_add_f64 v[66:67], v[148:149], v[66:67]
	v_mul_f64 v[148:149], v[152:153], s[20:21]
	v_mul_f64 v[152:153], v[152:153], s[26:27]
	v_add_f64 v[62:63], v[112:113], v[62:63]
	v_fma_f64 v[112:113], v[212:213], s[58:59], v[74:75]
	v_add_f64 v[128:129], v[10:11], v[128:129]
	v_fma_f64 v[74:75], v[212:213], s[16:17], v[74:75]
	v_fma_f64 v[164:165], v[204:205], s[10:11], v[182:183]
	v_add_f64 v[66:67], v[70:71], v[66:67]
	v_mul_f64 v[198:199], v[120:121], s[8:9]
	v_add_f64 v[152:153], v[156:157], v[152:153]
	v_mul_f64 v[156:157], v[188:189], s[34:35]
	;; [unrolled: 2-line block ×3, first 2 shown]
	v_mul_f64 v[144:145], v[144:145], s[10:11]
	v_mul_f64 v[188:189], v[188:189], s[30:31]
	v_add_f64 v[66:67], v[74:75], v[66:67]
	v_add_f64 v[74:75], v[210:211], v[214:215]
	v_mul_f64 v[72:73], v[130:131], s[8:9]
	v_add_f64 v[60:61], v[164:165], v[60:61]
	v_mul_f64 v[164:165], v[130:131], s[10:11]
	v_mul_f64 v[208:209], v[142:143], s[20:21]
	v_add_f64 v[140:141], v[140:141], v[144:145]
	v_mul_f64 v[144:145], v[174:175], s[10:11]
	;; [unrolled: 3-line block ×3, first 2 shown]
	v_mul_f64 v[120:121], v[172:173], s[10:11]
	v_mul_f64 v[172:173], v[172:173], s[28:29]
	v_add_f64 v[26:27], v[208:209], -v[117:118]
	v_add_f64 v[128:129], v[140:141], v[128:129]
	v_mul_f64 v[130:131], v[166:167], s[34:35]
	v_add_f64 v[170:171], v[170:171], v[174:175]
	v_add_f64 v[30:31], v[134:135], v[144:145]
	v_mul_f64 v[140:141], v[166:167], s[30:31]
	v_mul_f64 v[142:143], v[206:207], s[26:27]
	v_add_f64 v[28:29], v[172:173], -v[138:139]
	v_mul_f64 v[174:175], v[190:191], s[34:35]
	v_add_f64 v[128:129], v[152:153], v[128:129]
	v_mul_f64 v[152:153], v[206:207], s[34:35]
	v_mul_f64 v[206:207], v[204:205], s[30:31]
	;; [unrolled: 1-line block ×7, first 2 shown]
	v_add_f64 v[128:129], v[170:171], v[128:129]
	v_add_f64 v[152:153], v[200:201], v[152:153]
	v_mul_f64 v[170:171], v[218:219], s[28:29]
	v_mul_f64 v[212:213], v[226:227], s[30:31]
	v_add_f64 v[36:37], v[16:17], v[18:19]
	v_fma_f64 v[200:201], v[218:219], s[30:31], v[216:217]
	v_add_f64 v[58:59], v[222:223], v[224:225]
	v_add_f64 v[128:129], v[188:189], v[128:129]
	v_add_f64 v[32:33], v[170:171], -v[186:187]
	v_fma_f64 v[56:57], v[220:221], s[42:43], v[212:213]
	v_fma_f64 v[70:71], v[220:221], s[36:37], v[212:213]
	v_add_f64 v[128:129], v[152:153], v[128:129]
	v_fma_f64 v[152:153], v[218:219], s[30:31], -v[216:217]
	s_waitcnt vmcnt(4)
	v_add_f64 v[64:65], v[64:65], v[68:69]
	v_add_f64 v[68:69], v[74:75], v[128:129]
	buffer_load_dword v74, off, s[64:67], 0 offset:100 ; 4-byte Folded Reload
	buffer_load_dword v75, off, s[64:67], 0 offset:104 ; 4-byte Folded Reload
	;; [unrolled: 1-line block ×4, first 2 shown]
	s_waitcnt vmcnt(6)
	v_add_f64 v[20:21], v[196:197], -v[20:21]
	s_waitcnt vmcnt(4)
	v_add_f64 v[22:23], v[198:199], -v[22:23]
	v_add_f64 v[10:11], v[10:11], v[64:65]
	buffer_load_dword v64, off, s[64:67], 0 offset:20 ; 4-byte Folded Reload
	buffer_load_dword v65, off, s[64:67], 0 offset:24 ; 4-byte Folded Reload
	;; [unrolled: 1-line block ×4, first 2 shown]
	v_add_f64 v[14:15], v[58:59], v[68:69]
	v_add_f64 v[20:21], v[8:9], v[20:21]
	;; [unrolled: 1-line block ×3, first 2 shown]
	v_add_f64 v[22:23], v[136:137], -v[126:127]
	s_waitcnt vmcnt(6)
	v_add_f64 v[74:75], v[164:165], -v[74:75]
	s_waitcnt vmcnt(4)
	v_add_f64 v[112:113], v[122:123], v[112:113]
	s_waitcnt vmcnt(2)
	v_add_f64 v[64:65], v[72:73], -v[64:65]
	s_waitcnt vmcnt(0)
	v_add_f64 v[24:25], v[24:25], v[148:149]
	v_add_f64 v[10:11], v[112:113], v[10:11]
	;; [unrolled: 1-line block ×5, first 2 shown]
	v_add_f64 v[24:25], v[120:121], -v[132:133]
	v_add_f64 v[8:9], v[22:23], v[8:9]
	v_add_f64 v[22:23], v[140:141], -v[162:163]
	v_add_f64 v[20:21], v[26:27], v[20:21]
	v_add_f64 v[26:27], v[150:151], v[156:157]
	;; [unrolled: 1-line block ×3, first 2 shown]
	v_add_f64 v[30:31], v[130:131], -v[146:147]
	v_add_f64 v[8:9], v[28:29], v[8:9]
	v_add_f64 v[28:29], v[158:159], v[142:143]
	;; [unrolled: 1-line block ×3, first 2 shown]
	v_add_f64 v[24:25], v[174:175], -v[168:169]
	v_add_f64 v[10:11], v[26:27], v[10:11]
	v_add_f64 v[26:27], v[108:109], -v[154:155]
	v_add_f64 v[8:9], v[22:23], v[8:9]
	;; [unrolled: 2-line block ×3, first 2 shown]
	v_add_f64 v[30:31], v[178:179], v[110:111]
	v_add_f64 v[10:11], v[28:29], v[10:11]
	v_add_f64 v[28:29], v[206:207], -v[176:177]
	v_add_f64 v[8:9], v[24:25], v[8:9]
	v_add_f64 v[24:25], v[114:115], -v[194:195]
	v_add_f64 v[20:21], v[26:27], v[20:21]
	v_add_f64 v[26:27], v[192:193], v[166:167]
	;; [unrolled: 1-line block ×14, first 2 shown]
	v_mul_lo_u16_e32 v28, 17, v239
	v_add_lshl_u32 v28, v236, v28, 4
	ds_write_b128 v28, v[20:23]
	ds_write_b128 v28, v[16:19] offset:16
	ds_write_b128 v28, v[12:15] offset:32
	;; [unrolled: 1-line block ×16, first 2 shown]
.LBB0_7:
	s_or_b64 exec, exec, s[22:23]
	s_movk_i32 s8, 0x55
	v_add_co_u32_e32 v3, vcc, s8, v239
	s_movk_i32 s8, 0xaa
	v_add_co_u32_e32 v2, vcc, s8, v239
	;; [unrolled: 2-line block ×3, first 2 shown]
	s_movk_i32 s8, 0xf1
	v_mul_lo_u16_sdwa v1, v239, s8 dst_sel:DWORD dst_unused:UNUSED_PAD src0_sel:BYTE_0 src1_sel:DWORD
	v_lshrrev_b16_e32 v28, 12, v1
	v_mul_lo_u16_e32 v1, 17, v28
	v_sub_u16_e32 v29, v239, v1
	v_mov_b32_e32 v1, 5
	v_lshlrev_b32_sdwa v4, v1, v29 dst_sel:DWORD dst_unused:UNUSED_PAD src0_sel:DWORD src1_sel:BYTE_0
	s_load_dwordx4 s[4:7], s[6:7], 0x0
	s_waitcnt vmcnt(0) lgkmcnt(0)
	s_barrier
	global_load_dwordx4 v[40:43], v4, s[2:3] offset:16
	global_load_dwordx4 v[44:47], v4, s[2:3]
	v_mul_lo_u16_sdwa v4, v3, s8 dst_sel:DWORD dst_unused:UNUSED_PAD src0_sel:BYTE_0 src1_sel:DWORD
	v_lshrrev_b16_e32 v30, 12, v4
	v_mul_lo_u16_e32 v4, 17, v30
	v_sub_u16_e32 v31, v3, v4
	v_lshlrev_b32_sdwa v4, v1, v31 dst_sel:DWORD dst_unused:UNUSED_PAD src0_sel:DWORD src1_sel:BYTE_0
	global_load_dwordx4 v[210:213], v4, s[2:3] offset:16
	global_load_dwordx4 v[214:217], v4, s[2:3]
	v_mul_lo_u16_sdwa v4, v2, s8 dst_sel:DWORD dst_unused:UNUSED_PAD src0_sel:BYTE_0 src1_sel:DWORD
	v_lshrrev_b16_e32 v32, 12, v4
	v_mul_lo_u16_e32 v4, 17, v32
	v_sub_u16_e32 v33, v2, v4
	v_lshlrev_b32_sdwa v1, v1, v33 dst_sel:DWORD dst_unused:UNUSED_PAD src0_sel:DWORD src1_sel:BYTE_0
	s_mov_b32 s8, 0xf0f1
	global_load_dwordx4 v[218:221], v1, s[2:3] offset:16
	global_load_dwordx4 v[222:225], v1, s[2:3]
	v_mul_u32_u24_sdwa v1, v0, s8 dst_sel:DWORD dst_unused:UNUSED_PAD src0_sel:WORD_0 src1_sel:DWORD
	v_lshrrev_b32_e32 v34, 20, v1
	v_mul_lo_u16_e32 v1, 17, v34
	v_sub_u16_e32 v35, v0, v1
	v_lshlrev_b16_e32 v0, 1, v35
	v_lshlrev_b32_e32 v0, 4, v0
	s_movk_i32 s9, 0x154
	global_load_dwordx4 v[230:233], v0, s[2:3]
	global_load_dwordx4 v[226:229], v0, s[2:3] offset:16
	v_add_co_u32_e32 v0, vcc, s9, v239
	v_mul_u32_u24_sdwa v1, v0, s8 dst_sel:DWORD dst_unused:UNUSED_PAD src0_sel:WORD_0 src1_sel:DWORD
	v_lshrrev_b32_e32 v36, 20, v1
	v_mul_lo_u16_e32 v1, 17, v36
	v_sub_u16_e32 v37, v0, v1
	v_lshlrev_b16_e32 v0, 1, v37
	v_lshlrev_b32_e32 v0, 4, v0
	global_load_dwordx4 v[110:113], v0, s[2:3]
	global_load_dwordx4 v[251:254], v0, s[2:3] offset:16
	v_add_lshl_u32 v255, v236, v239, 4
	ds_read_b128 v[4:7], v255
	ds_read_b128 v[8:11], v255 offset:1360
	ds_read_b128 v[48:51], v255 offset:13600
	;; [unrolled: 1-line block ×14, first 2 shown]
	s_mov_b32 s8, 0xe8584caa
	s_mov_b32 s9, 0x3febb67a
	;; [unrolled: 1-line block ×8, first 2 shown]
	v_lshl_add_u32 v240, v239, 4, v241
	s_waitcnt vmcnt(9) lgkmcnt(12)
	v_mul_f64 v[14:15], v[50:51], v[42:43]
	s_waitcnt vmcnt(8) lgkmcnt(4)
	v_mul_f64 v[0:1], v[82:83], v[46:47]
	v_mul_f64 v[16:17], v[48:49], v[42:43]
	;; [unrolled: 1-line block ×3, first 2 shown]
	s_waitcnt vmcnt(7)
	v_mul_f64 v[22:23], v[54:55], v[212:213]
	v_mul_f64 v[24:25], v[52:53], v[212:213]
	v_fma_f64 v[14:15], v[48:49], v[40:41], -v[14:15]
	v_fma_f64 v[0:1], v[80:81], v[44:45], -v[0:1]
	s_waitcnt vmcnt(6)
	v_mul_f64 v[18:19], v[58:59], v[216:217]
	v_fma_f64 v[16:17], v[50:51], v[40:41], v[16:17]
	v_mul_f64 v[20:21], v[56:57], v[216:217]
	s_waitcnt vmcnt(5)
	v_mul_f64 v[102:103], v[74:75], v[220:221]
	s_waitcnt vmcnt(4)
	v_mul_f64 v[100:101], v[60:61], v[224:225]
	v_fma_f64 v[22:23], v[52:53], v[210:211], -v[22:23]
	v_fma_f64 v[12:13], v[82:83], v[44:45], v[12:13]
	v_mul_f64 v[104:105], v[72:73], v[220:221]
	v_fma_f64 v[18:19], v[56:57], v[214:215], -v[18:19]
	v_fma_f64 v[24:25], v[54:55], v[210:211], v[24:25]
	v_add_f64 v[54:55], v[0:1], v[14:15]
	v_fma_f64 v[72:73], v[72:73], v[218:219], -v[102:103]
	s_waitcnt vmcnt(2)
	v_mul_f64 v[48:49], v[78:79], v[228:229]
	v_fma_f64 v[80:81], v[62:63], v[222:223], v[100:101]
	v_mul_f64 v[50:51], v[76:77], v[228:229]
	v_mul_f64 v[26:27], v[62:63], v[224:225]
	v_fma_f64 v[20:21], v[58:59], v[214:215], v[20:21]
	s_waitcnt lgkmcnt(2)
	v_mul_f64 v[106:107], v[90:91], v[232:233]
	v_fma_f64 v[74:75], v[74:75], v[218:219], v[104:105]
	v_mul_f64 v[108:109], v[88:89], v[232:233]
	s_waitcnt vmcnt(1) lgkmcnt(1)
	v_mul_f64 v[52:53], v[94:95], v[112:113]
	v_fma_f64 v[100:101], v[76:77], v[226:227], -v[48:49]
	v_mul_f64 v[48:49], v[92:93], v[112:113]
	s_waitcnt vmcnt(0) lgkmcnt(0)
	v_mul_f64 v[56:57], v[98:99], v[253:254]
	v_fma_f64 v[102:103], v[78:79], v[226:227], v[50:51]
	v_add_f64 v[50:51], v[4:5], v[0:1]
	v_mul_f64 v[58:59], v[96:97], v[253:254]
	v_fma_f64 v[26:27], v[60:61], v[222:223], -v[26:27]
	v_fma_f64 v[92:93], v[92:93], v[110:111], -v[52:53]
	buffer_store_dword v110, off, s[64:67], 0 offset:4 ; 4-byte Folded Spill
	s_nop 0
	buffer_store_dword v111, off, s[64:67], 0 offset:8 ; 4-byte Folded Spill
	buffer_store_dword v112, off, s[64:67], 0 offset:12 ; 4-byte Folded Spill
	buffer_store_dword v113, off, s[64:67], 0 offset:16 ; 4-byte Folded Spill
	v_fma_f64 v[52:53], v[54:55], -0.5, v[4:5]
	v_fma_f64 v[96:97], v[96:97], v[251:252], -v[56:57]
	v_add_f64 v[56:57], v[12:13], v[16:17]
	v_add_f64 v[54:55], v[12:13], -v[16:17]
	v_add_f64 v[4:5], v[50:51], v[14:15]
	v_add_f64 v[12:13], v[6:7], v[12:13]
	;; [unrolled: 1-line block ×3, first 2 shown]
	v_add_f64 v[0:1], v[0:1], -v[14:15]
	v_fma_f64 v[98:99], v[98:99], v[251:252], v[58:59]
	v_add_f64 v[14:15], v[8:9], v[18:19]
	v_fma_f64 v[56:57], v[56:57], -0.5, v[6:7]
	v_add_f64 v[58:59], v[20:21], -v[24:25]
	v_fma_f64 v[82:83], v[88:89], v[230:231], -v[106:107]
	v_add_f64 v[6:7], v[12:13], v[16:17]
	v_add_f64 v[12:13], v[20:21], v[24:25]
	v_fma_f64 v[16:17], v[50:51], -0.5, v[8:9]
	v_add_f64 v[20:21], v[10:11], v[20:21]
	v_add_f64 v[8:9], v[14:15], v[22:23]
	v_fma_f64 v[50:51], v[0:1], s[10:11], v[56:57]
	v_add_f64 v[14:15], v[18:19], -v[22:23]
	v_fma_f64 v[90:91], v[90:91], v[230:231], v[108:109]
	v_add_f64 v[18:19], v[64:65], v[26:27]
	v_fma_f64 v[12:13], v[12:13], -0.5, v[10:11]
	v_fma_f64 v[60:61], v[58:59], s[10:11], v[16:17]
	v_add_f64 v[10:11], v[20:21], v[24:25]
	v_add_f64 v[20:21], v[80:81], -v[74:75]
	v_add_f64 v[22:23], v[82:83], v[100:101]
	v_add_f64 v[24:25], v[90:91], -v[102:103]
	s_waitcnt vmcnt(0)
	s_barrier
	v_fma_f64 v[62:63], v[14:15], s[8:9], v[12:13]
	v_fma_f64 v[22:23], v[22:23], -0.5, v[68:69]
	v_fma_f64 v[88:89], v[24:25], s[10:11], v[22:23]
	v_fma_f64 v[94:95], v[94:95], v[110:111], v[48:49]
	;; [unrolled: 1-line block ×5, first 2 shown]
	v_add_f64 v[0:1], v[26:27], v[72:73]
	v_fma_f64 v[56:57], v[58:59], s[8:9], v[16:17]
	v_add_f64 v[16:17], v[80:81], v[74:75]
	v_fma_f64 v[58:59], v[14:15], s[10:11], v[12:13]
	;; [unrolled: 2-line block ×3, first 2 shown]
	v_add_f64 v[22:23], v[94:95], -v[98:99]
	v_add_f64 v[24:25], v[86:87], v[94:95]
	v_fma_f64 v[0:1], v[0:1], -0.5, v[64:65]
	v_add_f64 v[64:65], v[18:19], v[72:73]
	v_fma_f64 v[14:15], v[16:17], -0.5, v[66:67]
	v_add_f64 v[16:17], v[26:27], -v[72:73]
	v_add_f64 v[18:19], v[68:69], v[82:83]
	v_add_f64 v[66:67], v[12:13], v[74:75]
	;; [unrolled: 1-line block ×3, first 2 shown]
	v_add_f64 v[26:27], v[92:93], -v[96:97]
	v_fma_f64 v[72:73], v[20:21], s[8:9], v[0:1]
	v_fma_f64 v[76:77], v[20:21], s[10:11], v[0:1]
	v_add_f64 v[0:1], v[90:91], v[102:103]
	v_fma_f64 v[74:75], v[16:17], s[10:11], v[14:15]
	v_fma_f64 v[78:79], v[16:17], s[8:9], v[14:15]
	v_add_f64 v[14:15], v[94:95], v[98:99]
	v_add_f64 v[68:69], v[18:19], v[100:101]
	v_add_f64 v[18:19], v[82:83], -v[100:101]
	v_add_f64 v[16:17], v[70:71], v[90:91]
	v_add_f64 v[20:21], v[84:85], v[92:93]
	v_fma_f64 v[0:1], v[0:1], -0.5, v[70:71]
	v_fma_f64 v[12:13], v[12:13], -0.5, v[84:85]
	;; [unrolled: 1-line block ×3, first 2 shown]
	v_add_f64 v[86:87], v[24:25], v[98:99]
	v_add_f64 v[70:71], v[16:17], v[102:103]
	;; [unrolled: 1-line block ×3, first 2 shown]
	v_fma_f64 v[82:83], v[18:19], s[10:11], v[0:1]
	v_fma_f64 v[90:91], v[18:19], s[8:9], v[0:1]
	v_mul_u32_u24_e32 v0, 51, v28
	v_add_u32_sdwa v0, v0, v29 dst_sel:DWORD dst_unused:UNUSED_PAD src0_sel:DWORD src1_sel:BYTE_0
	v_add_lshl_u32 v234, v236, v0, 4
	v_mul_u32_u24_e32 v0, 51, v30
	v_add_u32_sdwa v0, v0, v31 dst_sel:DWORD dst_unused:UNUSED_PAD src0_sel:DWORD src1_sel:BYTE_0
	v_add_lshl_u32 v235, v236, v0, 4
	;; [unrolled: 3-line block ×3, first 2 shown]
	v_mad_legacy_u16 v0, v34, 51, v35
	v_fma_f64 v[92:93], v[22:23], s[8:9], v[12:13]
	v_fma_f64 v[98:99], v[26:27], s[8:9], v[14:15]
	ds_write_b128 v234, v[4:7]
	ds_write_b128 v234, v[48:51] offset:272
	ds_write_b128 v234, v[52:55] offset:544
	ds_write_b128 v235, v[8:11]
	ds_write_b128 v235, v[56:59] offset:272
	ds_write_b128 v235, v[60:63] offset:544
	;; [unrolled: 3-line block ×3, first 2 shown]
	v_add_lshl_u32 v72, v236, v0, 4
	v_mad_legacy_u16 v0, v36, 51, v37
	s_movk_i32 s8, 0xffcd
	v_fma_f64 v[94:95], v[26:27], s[10:11], v[14:15]
	v_add_lshl_u32 v73, v236, v0, 4
	v_add_co_u32_e32 v0, vcc, s8, v239
	v_fma_f64 v[96:97], v[22:23], s[10:11], v[12:13]
	v_addc_co_u32_e64 v1, s[8:9], 0, -1, vcc
	v_cmp_gt_u16_e32 vcc, 51, v239
	v_cndmask_b32_e64 v1, v1, 0, vcc
	v_cndmask_b32_e32 v0, v0, v239, vcc
	v_lshlrev_b64 v[4:5], 6, v[0:1]
	v_mov_b32_e32 v1, s3
	v_add_co_u32_e32 v4, vcc, s2, v4
	v_addc_co_u32_e32 v5, vcc, v1, v5, vcc
	ds_write_b128 v72, v[68:71]
	ds_write_b128 v72, v[80:83] offset:272
	ds_write_b128 v72, v[88:91] offset:544
	ds_write_b128 v73, v[84:87]
	ds_write_b128 v73, v[92:95] offset:272
	ds_write_b128 v73, v[96:99] offset:544
	s_waitcnt lgkmcnt(0)
	s_barrier
	global_load_dwordx4 v[82:85], v[4:5], off offset:544
	global_load_dwordx4 v[78:81], v[4:5], off offset:560
	;; [unrolled: 1-line block ×4, first 2 shown]
	s_movk_i32 s8, 0xa1
	v_mul_lo_u16_sdwa v1, v3, s8 dst_sel:DWORD dst_unused:UNUSED_PAD src0_sel:BYTE_0 src1_sel:DWORD
	v_lshrrev_b16_e32 v1, 13, v1
	v_mul_lo_u16_e32 v4, 51, v1
	v_sub_u16_e32 v4, v3, v4
	v_mov_b32_e32 v7, 6
	v_lshlrev_b32_sdwa v5, v7, v4 dst_sel:DWORD dst_unused:UNUSED_PAD src0_sel:DWORD src1_sel:BYTE_0
	global_load_dwordx4 v[35:38], v5, s[2:3] offset:544
	global_load_dwordx4 v[31:34], v5, s[2:3] offset:560
	;; [unrolled: 1-line block ×4, first 2 shown]
	v_mul_lo_u16_sdwa v5, v2, s8 dst_sel:DWORD dst_unused:UNUSED_PAD src0_sel:BYTE_0 src1_sel:DWORD
	v_lshrrev_b16_e32 v5, 13, v5
	v_mul_lo_u16_e32 v6, 51, v5
	v_sub_u16_e32 v6, v2, v6
	v_lshlrev_b32_sdwa v7, v7, v6 dst_sel:DWORD dst_unused:UNUSED_PAD src0_sel:DWORD src1_sel:BYTE_0
	global_load_dwordx4 v[56:59], v7, s[2:3] offset:544
	global_load_dwordx4 v[52:55], v7, s[2:3] offset:560
	;; [unrolled: 1-line block ×4, first 2 shown]
	ds_read_b128 v[7:10], v255
	ds_read_b128 v[96:99], v255 offset:1360
	ds_read_b128 v[100:103], v255 offset:8160
	;; [unrolled: 1-line block ×14, first 2 shown]
	s_mov_b32 s8, 0x134454ff
	s_mov_b32 s9, 0x3fee6f0e
	;; [unrolled: 1-line block ×6, first 2 shown]
	v_cmp_lt_u16_e32 vcc, 50, v239
	s_waitcnt vmcnt(11) lgkmcnt(8)
	v_mul_f64 v[11:12], v[118:119], v[84:85]
	s_waitcnt vmcnt(10)
	v_mul_f64 v[15:16], v[102:103], v[80:81]
	v_mul_f64 v[17:18], v[100:101], v[80:81]
	s_waitcnt vmcnt(8)
	v_mul_f64 v[23:24], v[110:111], v[70:71]
	s_waitcnt lgkmcnt(4)
	v_mul_f64 v[21:22], v[132:133], v[76:77]
	v_mul_f64 v[25:26], v[108:109], v[70:71]
	;; [unrolled: 1-line block ×4, first 2 shown]
	v_fma_f64 v[11:12], v[116:117], v[82:83], -v[11:12]
	v_fma_f64 v[15:16], v[100:101], v[78:79], -v[15:16]
	s_waitcnt vmcnt(7)
	v_mul_f64 v[100:101], v[126:127], v[37:38]
	v_fma_f64 v[17:18], v[102:103], v[78:79], v[17:18]
	v_mul_f64 v[102:103], v[124:125], v[37:38]
	v_fma_f64 v[23:24], v[108:109], v[68:69], -v[23:24]
	s_waitcnt vmcnt(6)
	v_mul_f64 v[108:109], v[106:107], v[33:34]
	v_fma_f64 v[21:22], v[134:135], v[74:75], v[21:22]
	v_fma_f64 v[25:26], v[110:111], v[68:69], v[25:26]
	v_mul_f64 v[110:111], v[104:105], v[33:34]
	v_fma_f64 v[124:125], v[124:125], v[35:36], -v[100:101]
	buffer_store_dword v35, off, s[64:67], 0 offset:52 ; 4-byte Folded Spill
	s_nop 0
	buffer_store_dword v36, off, s[64:67], 0 offset:56 ; 4-byte Folded Spill
	buffer_store_dword v37, off, s[64:67], 0 offset:60 ; 4-byte Folded Spill
	;; [unrolled: 1-line block ×3, first 2 shown]
	s_waitcnt vmcnt(9) lgkmcnt(2)
	v_mul_f64 v[116:117], v[142:143], v[29:30]
	s_waitcnt vmcnt(8)
	v_mul_f64 v[100:101], v[114:115], v[92:93]
	v_fma_f64 v[134:135], v[104:105], v[31:32], -v[108:109]
	buffer_store_dword v31, off, s[64:67], 0 offset:36 ; 4-byte Folded Spill
	s_nop 0
	buffer_store_dword v32, off, s[64:67], 0 offset:40 ; 4-byte Folded Spill
	buffer_store_dword v33, off, s[64:67], 0 offset:44 ; 4-byte Folded Spill
	;; [unrolled: 1-line block ×3, first 2 shown]
	v_fma_f64 v[13:14], v[118:119], v[82:83], v[13:14]
	v_mul_f64 v[118:119], v[140:141], v[29:30]
	s_waitcnt vmcnt(10)
	v_mul_f64 v[104:105], v[138:139], v[54:55]
	v_fma_f64 v[19:20], v[132:133], v[74:75], -v[19:20]
	v_fma_f64 v[140:141], v[140:141], v[27:28], -v[116:117]
	buffer_store_dword v27, off, s[64:67], 0 offset:20 ; 4-byte Folded Spill
	s_nop 0
	buffer_store_dword v28, off, s[64:67], 0 offset:24 ; 4-byte Folded Spill
	buffer_store_dword v29, off, s[64:67], 0 offset:28 ; 4-byte Folded Spill
	;; [unrolled: 1-line block ×3, first 2 shown]
	v_fma_f64 v[116:117], v[112:113], v[90:91], -v[100:101]
	v_mul_f64 v[100:101], v[128:129], v[58:59]
	v_mul_f64 v[132:133], v[112:113], v[92:93]
	;; [unrolled: 1-line block ×3, first 2 shown]
	s_waitcnt vmcnt(13) lgkmcnt(1)
	v_mul_f64 v[112:113], v[144:145], v[50:51]
	v_fma_f64 v[158:159], v[136:137], v[52:53], -v[104:105]
	v_add_f64 v[136:137], v[140:141], -v[116:117]
	v_fma_f64 v[126:127], v[126:127], v[35:36], v[102:103]
	v_mul_f64 v[102:103], v[130:131], v[58:59]
	v_fma_f64 v[152:153], v[106:107], v[31:32], v[110:111]
	v_add_f64 v[106:107], v[7:8], v[11:12]
	v_add_f64 v[110:111], v[15:16], v[19:20]
	v_fma_f64 v[154:155], v[128:129], v[56:57], -v[102:103]
	v_mul_f64 v[102:103], v[146:147], v[50:51]
	buffer_store_dword v56, off, s[64:67], 0 offset:100 ; 4-byte Folded Spill
	s_nop 0
	buffer_store_dword v57, off, s[64:67], 0 offset:104 ; 4-byte Folded Spill
	buffer_store_dword v58, off, s[64:67], 0 offset:108 ; 4-byte Folded Spill
	;; [unrolled: 1-line block ×4, first 2 shown]
	s_nop 0
	buffer_store_dword v53, off, s[64:67], 0 offset:88 ; 4-byte Folded Spill
	buffer_store_dword v54, off, s[64:67], 0 offset:92 ; 4-byte Folded Spill
	;; [unrolled: 1-line block ×3, first 2 shown]
	v_fma_f64 v[118:119], v[142:143], v[27:28], v[118:119]
	v_fma_f64 v[142:143], v[114:115], v[90:91], v[132:133]
	v_fma_f64 v[104:105], v[110:111], -0.5, v[7:8]
	v_add_f64 v[114:115], v[11:12], v[23:24]
	v_add_f64 v[128:129], v[11:12], -v[15:16]
	v_fma_f64 v[144:145], v[144:145], v[48:49], -v[102:103]
	buffer_store_dword v48, off, s[64:67], 0 offset:68 ; 4-byte Folded Spill
	s_nop 0
	buffer_store_dword v49, off, s[64:67], 0 offset:72 ; 4-byte Folded Spill
	buffer_store_dword v50, off, s[64:67], 0 offset:76 ; 4-byte Folded Spill
	;; [unrolled: 1-line block ×3, first 2 shown]
	s_waitcnt vmcnt(24) lgkmcnt(0)
	v_mul_f64 v[102:103], v[150:151], v[88:89]
	v_add_f64 v[132:133], v[19:20], -v[23:24]
	s_waitcnt vmcnt(0)
	s_barrier
	v_fma_f64 v[7:8], v[114:115], -0.5, v[7:8]
	v_add_f64 v[114:115], v[17:18], v[21:22]
	v_fma_f64 v[114:115], v[114:115], -0.5, v[9:10]
	v_fma_f64 v[156:157], v[130:131], v[56:57], v[100:101]
	v_add_f64 v[100:101], v[106:107], v[15:16]
	v_add_f64 v[106:107], v[13:14], -v[25:26]
	v_fma_f64 v[138:139], v[138:139], v[52:53], v[108:109]
	v_mul_f64 v[108:109], v[148:149], v[88:89]
	v_add_f64 v[130:131], v[23:24], -v[19:20]
	v_fma_f64 v[148:149], v[148:149], v[86:87], -v[102:103]
	v_fma_f64 v[146:147], v[146:147], v[48:49], v[112:113]
	v_add_f64 v[112:113], v[17:18], -v[21:22]
	v_fma_f64 v[110:111], v[106:107], s[8:9], v[104:105]
	v_add_f64 v[100:101], v[100:101], v[19:20]
	v_fma_f64 v[150:151], v[150:151], v[86:87], v[108:109]
	v_add_f64 v[108:109], v[128:129], v[130:131]
	v_fma_f64 v[104:105], v[106:107], s[16:17], v[104:105]
	v_add_f64 v[130:131], v[15:16], -v[11:12]
	v_add_f64 v[11:12], v[11:12], -v[23:24]
	v_fma_f64 v[128:129], v[112:113], s[16:17], v[7:8]
	v_fma_f64 v[102:103], v[112:113], s[10:11], v[110:111]
	v_add_f64 v[110:111], v[9:10], v[13:14]
	v_add_f64 v[100:101], v[100:101], v[23:24]
	v_fma_f64 v[7:8], v[112:113], s[8:9], v[7:8]
	v_fma_f64 v[23:24], v[112:113], s[18:19], v[104:105]
	v_add_f64 v[15:16], v[15:16], -v[19:20]
	v_fma_f64 v[112:113], v[106:107], s[10:11], v[128:129]
	v_add_f64 v[128:129], v[130:131], v[132:133]
	v_add_f64 v[110:111], v[110:111], v[17:18]
	;; [unrolled: 1-line block ×3, first 2 shown]
	v_fma_f64 v[106:107], v[106:107], s[18:19], v[7:8]
	v_fma_f64 v[130:131], v[11:12], s[16:17], v[114:115]
	;; [unrolled: 1-line block ×4, first 2 shown]
	v_add_f64 v[23:24], v[13:14], -v[17:18]
	v_fma_f64 v[108:109], v[128:129], s[20:21], v[112:113]
	v_add_f64 v[110:111], v[110:111], v[21:22]
	v_fma_f64 v[9:10], v[132:133], -0.5, v[9:10]
	v_fma_f64 v[112:113], v[128:129], s[20:21], v[106:107]
	v_fma_f64 v[19:20], v[15:16], s[18:19], v[130:131]
	v_add_f64 v[106:107], v[25:26], -v[21:22]
	v_fma_f64 v[114:115], v[11:12], s[8:9], v[114:115]
	v_add_f64 v[128:129], v[134:135], v[140:141]
	v_add_f64 v[13:14], v[17:18], -v[13:14]
	v_add_f64 v[102:103], v[110:111], v[25:26]
	v_add_f64 v[110:111], v[96:97], v[124:125]
	v_fma_f64 v[130:131], v[15:16], s[8:9], v[9:10]
	v_add_f64 v[17:18], v[21:22], -v[25:26]
	v_fma_f64 v[9:10], v[15:16], s[16:17], v[9:10]
	v_add_f64 v[21:22], v[23:24], v[106:107]
	v_fma_f64 v[15:16], v[15:16], s[10:11], v[114:115]
	v_fma_f64 v[25:26], v[128:129], -0.5, v[96:97]
	v_add_f64 v[128:129], v[126:127], -v[142:143]
	v_add_f64 v[23:24], v[110:111], v[134:135]
	v_fma_f64 v[110:111], v[11:12], s[18:19], v[130:131]
	v_add_f64 v[13:14], v[13:14], v[17:18]
	v_fma_f64 v[11:12], v[11:12], s[10:11], v[9:10]
	;; [unrolled: 2-line block ×3, first 2 shown]
	v_fma_f64 v[106:107], v[21:22], s[20:21], v[15:16]
	v_fma_f64 v[15:16], v[128:129], s[8:9], v[25:26]
	v_add_f64 v[23:24], v[23:24], v[140:141]
	v_add_f64 v[19:20], v[152:153], -v[118:119]
	v_fma_f64 v[110:111], v[13:14], s[20:21], v[110:111]
	v_fma_f64 v[114:115], v[13:14], s[20:21], v[11:12]
	v_fma_f64 v[11:12], v[17:18], -0.5, v[96:97]
	v_add_f64 v[13:14], v[124:125], -v[134:135]
	v_add_f64 v[17:18], v[116:117], -v[140:141]
	v_fma_f64 v[21:22], v[128:129], s[16:17], v[25:26]
	v_add_f64 v[96:97], v[23:24], v[116:117]
	v_fma_f64 v[15:16], v[19:20], s[10:11], v[15:16]
	v_add_f64 v[23:24], v[98:99], v[126:127]
	v_add_f64 v[25:26], v[152:153], v[118:119]
	v_fma_f64 v[130:131], v[19:20], s[16:17], v[11:12]
	v_add_f64 v[132:133], v[134:135], -v[124:125]
	v_add_f64 v[13:14], v[13:14], v[17:18]
	v_fma_f64 v[11:12], v[19:20], s[8:9], v[11:12]
	v_fma_f64 v[17:18], v[19:20], s[18:19], v[21:22]
	v_add_f64 v[19:20], v[23:24], v[152:153]
	v_fma_f64 v[21:22], v[25:26], -0.5, v[98:99]
	v_add_f64 v[23:24], v[124:125], -v[116:117]
	v_fma_f64 v[25:26], v[128:129], s[10:11], v[130:131]
	v_add_f64 v[130:131], v[132:133], v[136:137]
	v_fma_f64 v[116:117], v[13:14], s[20:21], v[15:16]
	v_fma_f64 v[11:12], v[128:129], s[18:19], v[11:12]
	v_add_f64 v[15:16], v[126:127], v[142:143]
	v_fma_f64 v[124:125], v[13:14], s[20:21], v[17:18]
	v_add_f64 v[13:14], v[19:20], v[118:119]
	v_fma_f64 v[17:18], v[23:24], s[16:17], v[21:22]
	v_add_f64 v[19:20], v[134:135], -v[140:141]
	v_fma_f64 v[128:129], v[130:131], s[20:21], v[25:26]
	v_add_f64 v[25:26], v[158:159], v[144:145]
	v_add_f64 v[134:135], v[126:127], -v[152:153]
	v_add_f64 v[136:137], v[142:143], -v[118:119]
	v_fma_f64 v[132:133], v[130:131], s[20:21], v[11:12]
	v_fma_f64 v[11:12], v[15:16], -0.5, v[98:99]
	v_add_f64 v[98:99], v[13:14], v[142:143]
	v_fma_f64 v[13:14], v[19:20], s[18:19], v[17:18]
	v_add_f64 v[15:16], v[120:121], v[154:155]
	v_fma_f64 v[17:18], v[25:26], -0.5, v[120:121]
	v_add_f64 v[25:26], v[156:157], -v[150:151]
	v_add_f64 v[130:131], v[134:135], v[136:137]
	v_fma_f64 v[21:22], v[23:24], s[8:9], v[21:22]
	v_fma_f64 v[134:135], v[19:20], s[8:9], v[11:12]
	v_add_f64 v[126:127], v[152:153], -v[126:127]
	v_add_f64 v[118:119], v[118:119], -v[142:143]
	v_fma_f64 v[11:12], v[19:20], s[16:17], v[11:12]
	v_add_f64 v[15:16], v[15:16], v[158:159]
	v_fma_f64 v[136:137], v[25:26], s[8:9], v[17:18]
	v_add_f64 v[140:141], v[138:139], -v[146:147]
	v_add_f64 v[142:143], v[154:155], -v[158:159]
	;; [unrolled: 1-line block ×3, first 2 shown]
	v_fma_f64 v[19:20], v[19:20], s[10:11], v[21:22]
	v_fma_f64 v[134:135], v[23:24], s[18:19], v[134:135]
	v_add_f64 v[160:161], v[126:127], v[118:119]
	v_fma_f64 v[11:12], v[23:24], s[10:11], v[11:12]
	v_add_f64 v[21:22], v[154:155], v[148:149]
	v_add_f64 v[15:16], v[15:16], v[144:145]
	v_fma_f64 v[23:24], v[140:141], s[10:11], v[136:137]
	v_add_f64 v[142:143], v[142:143], v[152:153]
	v_fma_f64 v[118:119], v[130:131], s[20:21], v[13:14]
	v_fma_f64 v[126:127], v[130:131], s[20:21], v[19:20]
	;; [unrolled: 1-line block ×4, first 2 shown]
	v_add_f64 v[11:12], v[138:139], v[146:147]
	v_fma_f64 v[13:14], v[21:22], -0.5, v[120:121]
	v_add_f64 v[21:22], v[156:157], v[150:151]
	v_add_f64 v[120:121], v[15:16], v[148:149]
	v_fma_f64 v[136:137], v[142:143], s[20:21], v[23:24]
	v_fma_f64 v[15:16], v[25:26], s[16:17], v[17:18]
	v_add_f64 v[19:20], v[158:159], -v[154:155]
	v_add_f64 v[23:24], v[144:145], -v[148:149]
	v_add_f64 v[152:153], v[122:123], v[156:157]
	v_fma_f64 v[11:12], v[11:12], -0.5, v[122:123]
	v_add_f64 v[148:149], v[154:155], -v[148:149]
	v_add_f64 v[144:145], v[158:159], -v[144:145]
	v_fma_f64 v[21:22], v[21:22], -0.5, v[122:123]
	v_fma_f64 v[17:18], v[140:141], s[16:17], v[13:14]
	v_fma_f64 v[15:16], v[140:141], s[18:19], v[15:16]
	v_add_f64 v[19:20], v[19:20], v[23:24]
	v_fma_f64 v[13:14], v[140:141], s[8:9], v[13:14]
	v_add_f64 v[23:24], v[152:153], v[138:139]
	v_fma_f64 v[122:123], v[148:149], s[16:17], v[11:12]
	v_add_f64 v[140:141], v[156:157], -v[138:139]
	v_add_f64 v[152:153], v[150:151], -v[146:147]
	v_fma_f64 v[11:12], v[148:149], s[8:9], v[11:12]
	v_fma_f64 v[154:155], v[144:145], s[8:9], v[21:22]
	v_add_f64 v[138:139], v[138:139], -v[156:157]
	v_add_f64 v[156:157], v[146:147], -v[150:151]
	v_fma_f64 v[21:22], v[144:145], s[16:17], v[21:22]
	v_add_f64 v[23:24], v[23:24], v[146:147]
	v_fma_f64 v[17:18], v[25:26], s[10:11], v[17:18]
	v_add_f64 v[146:147], v[140:141], v[152:153]
	v_fma_f64 v[11:12], v[144:145], s[10:11], v[11:12]
	v_fma_f64 v[13:14], v[25:26], s[18:19], v[13:14]
	;; [unrolled: 1-line block ×4, first 2 shown]
	v_add_f64 v[154:155], v[138:139], v[156:157]
	v_fma_f64 v[21:22], v[148:149], s[10:11], v[21:22]
	v_fma_f64 v[140:141], v[142:143], s[20:21], v[15:16]
	v_add_f64 v[122:123], v[23:24], v[150:151]
	v_fma_f64 v[142:143], v[146:147], s[20:21], v[11:12]
	v_mov_b32_e32 v11, 0xff
	v_fma_f64 v[138:139], v[146:147], s[20:21], v[25:26]
	v_cndmask_b32_e32 v11, 0, v11, vcc
	v_fma_f64 v[144:145], v[19:20], s[20:21], v[17:18]
	v_fma_f64 v[146:147], v[154:155], s[20:21], v[152:153]
	v_add_u32_e32 v0, v0, v11
	v_fma_f64 v[148:149], v[19:20], s[20:21], v[13:14]
	v_fma_f64 v[150:151], v[154:155], s[20:21], v[21:22]
	v_add_lshl_u32 v94, v236, v0, 4
	v_mul_u32_u24_e32 v0, 0xff, v1
	v_add_u32_sdwa v0, v0, v4 dst_sel:DWORD dst_unused:UNUSED_PAD src0_sel:DWORD src1_sel:BYTE_0
	v_add_lshl_u32 v95, v236, v0, 4
	v_mul_u32_u24_e32 v0, 0xff, v5
	v_add_u32_sdwa v0, v0, v6 dst_sel:DWORD dst_unused:UNUSED_PAD src0_sel:DWORD src1_sel:BYTE_0
	ds_write_b128 v94, v[100:103]
	ds_write_b128 v94, v[7:10] offset:816
	ds_write_b128 v94, v[108:111] offset:1632
	;; [unrolled: 1-line block ×4, first 2 shown]
	ds_write_b128 v95, v[96:99]
	ds_write_b128 v95, v[116:119] offset:816
	ds_write_b128 v95, v[128:131] offset:1632
	;; [unrolled: 1-line block ×4, first 2 shown]
	v_add_lshl_u32 v96, v236, v0, 4
	v_lshlrev_b32_e32 v0, 6, v239
	ds_write_b128 v96, v[120:123]
	ds_write_b128 v96, v[136:139] offset:816
	ds_write_b128 v96, v[144:147] offset:1632
	;; [unrolled: 1-line block ×4, first 2 shown]
	s_waitcnt lgkmcnt(0)
	s_barrier
	global_load_dwordx4 v[116:119], v0, s[2:3] offset:3808
	global_load_dwordx4 v[104:107], v0, s[2:3] offset:3824
	;; [unrolled: 1-line block ×4, first 2 shown]
	v_lshlrev_b32_e32 v0, 6, v3
	global_load_dwordx4 v[136:139], v0, s[2:3] offset:3808
	global_load_dwordx4 v[132:135], v0, s[2:3] offset:3824
	;; [unrolled: 1-line block ×4, first 2 shown]
	v_lshlrev_b32_e32 v0, 6, v2
	global_load_dwordx4 v[140:143], v0, s[2:3] offset:3808
	global_load_dwordx4 v[128:131], v0, s[2:3] offset:3824
	;; [unrolled: 1-line block ×4, first 2 shown]
	ds_read_b128 v[0:3], v255 offset:4080
	ds_read_b128 v[4:7], v255
	ds_read_b128 v[8:11], v255 offset:1360
	ds_read_b128 v[144:147], v255 offset:8160
	;; [unrolled: 1-line block ×13, first 2 shown]
	v_lshl_add_u32 v97, v239, 4, v241
	s_waitcnt vmcnt(11) lgkmcnt(14)
	v_mul_f64 v[14:15], v[0:1], v[118:119]
	v_mul_f64 v[12:13], v[2:3], v[118:119]
	s_waitcnt vmcnt(10) lgkmcnt(11)
	v_mul_f64 v[16:17], v[146:147], v[106:107]
	v_mul_f64 v[18:19], v[144:145], v[106:107]
	s_waitcnt vmcnt(8) lgkmcnt(9)
	v_mul_f64 v[20:21], v[154:155], v[30:31]
	v_mul_f64 v[22:23], v[152:153], v[30:31]
	s_waitcnt vmcnt(7) lgkmcnt(6)
	v_mul_f64 v[24:25], v[162:163], v[138:139]
	v_mul_f64 v[26:27], v[160:161], v[138:139]
	v_fma_f64 v[2:3], v[2:3], v[116:117], v[14:15]
	s_waitcnt lgkmcnt(4)
	v_mul_f64 v[14:15], v[170:171], v[34:35]
	v_fma_f64 v[0:1], v[0:1], v[116:117], -v[12:13]
	v_fma_f64 v[12:13], v[144:145], v[104:105], -v[16:17]
	v_fma_f64 v[16:17], v[146:147], v[104:105], v[18:19]
	v_mul_f64 v[18:19], v[168:169], v[34:35]
	v_fma_f64 v[20:21], v[152:153], v[28:29], -v[20:21]
	s_waitcnt vmcnt(6)
	v_mul_f64 v[144:145], v[150:151], v[134:135]
	v_mul_f64 v[146:147], v[148:149], v[134:135]
	v_fma_f64 v[14:15], v[168:169], v[32:33], -v[14:15]
	buffer_store_dword v32, off, s[64:67], 0 offset:132 ; 4-byte Folded Spill
	s_nop 0
	buffer_store_dword v33, off, s[64:67], 0 offset:136 ; 4-byte Folded Spill
	buffer_store_dword v34, off, s[64:67], 0 offset:140 ; 4-byte Folded Spill
	;; [unrolled: 1-line block ×4, first 2 shown]
	s_nop 0
	buffer_store_dword v29, off, s[64:67], 0 offset:120 ; 4-byte Folded Spill
	buffer_store_dword v30, off, s[64:67], 0 offset:124 ; 4-byte Folded Spill
	;; [unrolled: 1-line block ×3, first 2 shown]
	v_fma_f64 v[24:25], v[160:161], v[136:137], -v[24:25]
	s_waitcnt vmcnt(10) lgkmcnt(3)
	v_mul_f64 v[160:161], v[174:175], v[130:131]
	v_mul_f64 v[152:153], v[166:167], v[142:143]
	v_fma_f64 v[26:27], v[162:163], v[136:137], v[26:27]
	v_fma_f64 v[192:193], v[150:151], v[132:133], v[146:147]
	s_waitcnt lgkmcnt(2)
	v_mul_f64 v[146:147], v[176:177], v[114:115]
	v_mul_f64 v[150:151], v[156:157], v[110:111]
	v_fma_f64 v[200:201], v[172:173], v[128:129], -v[160:161]
	v_add_f64 v[160:161], v[0:1], v[20:21]
	v_fma_f64 v[196:197], v[164:165], v[140:141], -v[152:153]
	s_waitcnt vmcnt(9) lgkmcnt(1)
	v_mul_f64 v[152:153], v[182:183], v[126:127]
	v_fma_f64 v[194:195], v[158:159], v[108:109], v[150:151]
	v_mul_f64 v[150:151], v[172:173], v[130:131]
	v_fma_f64 v[204:205], v[180:181], v[124:125], -v[152:153]
	v_add_f64 v[152:153], v[0:1], -v[12:13]
	v_fma_f64 v[202:203], v[174:175], v[128:129], v[150:151]
	v_fma_f64 v[18:19], v[170:171], v[32:33], v[18:19]
	v_fma_f64 v[170:171], v[148:149], v[132:133], -v[144:145]
	v_mul_f64 v[144:145], v[178:179], v[114:115]
	v_fma_f64 v[22:23], v[154:155], v[28:29], v[22:23]
	v_mul_f64 v[148:149], v[158:159], v[110:111]
	v_mul_f64 v[154:155], v[164:165], v[142:143]
	v_fma_f64 v[178:179], v[178:179], v[112:113], v[146:147]
	v_add_f64 v[146:147], v[4:5], v[0:1]
	s_waitcnt vmcnt(8) lgkmcnt(0)
	v_mul_f64 v[158:159], v[188:189], v[122:123]
	v_add_f64 v[164:165], v[16:17], -v[18:19]
	v_fma_f64 v[176:177], v[176:177], v[112:113], -v[144:145]
	v_add_f64 v[144:145], v[12:13], v[14:15]
	v_fma_f64 v[168:169], v[156:157], v[108:109], -v[148:149]
	v_add_f64 v[148:149], v[2:3], -v[22:23]
	v_fma_f64 v[198:199], v[166:167], v[140:141], v[154:155]
	v_mul_f64 v[154:155], v[180:181], v[126:127]
	v_mul_f64 v[156:157], v[190:191], v[122:123]
	v_fma_f64 v[190:191], v[190:191], v[120:121], v[158:159]
	v_add_f64 v[158:159], v[20:21], -v[14:15]
	v_fma_f64 v[144:145], v[144:145], -0.5, v[4:5]
	v_fma_f64 v[4:5], v[160:161], -0.5, v[4:5]
	v_add_f64 v[166:167], v[14:15], -v[20:21]
	v_add_f64 v[146:147], v[146:147], v[12:13]
	v_fma_f64 v[206:207], v[182:183], v[124:125], v[154:155]
	v_fma_f64 v[208:209], v[188:189], v[120:121], -v[156:157]
	v_add_f64 v[154:155], v[6:7], v[2:3]
	v_add_f64 v[156:157], v[16:17], v[18:19]
	v_fma_f64 v[162:163], v[148:149], s[8:9], v[144:145]
	v_fma_f64 v[144:145], v[148:149], s[16:17], v[144:145]
	;; [unrolled: 1-line block ×4, first 2 shown]
	v_add_f64 v[152:153], v[152:153], v[158:159]
	v_add_f64 v[146:147], v[146:147], v[14:15]
	;; [unrolled: 1-line block ×3, first 2 shown]
	v_fma_f64 v[172:173], v[156:157], -0.5, v[6:7]
	v_fma_f64 v[150:151], v[164:165], s[10:11], v[162:163]
	v_add_f64 v[162:163], v[12:13], -v[0:1]
	v_fma_f64 v[156:157], v[164:165], s[18:19], v[144:145]
	v_fma_f64 v[4:5], v[148:149], s[18:19], v[4:5]
	v_add_f64 v[164:165], v[2:3], v[22:23]
	v_add_f64 v[0:1], v[0:1], -v[20:21]
	v_fma_f64 v[158:159], v[148:149], s[10:11], v[160:161]
	v_add_f64 v[154:155], v[154:155], v[18:19]
	v_add_f64 v[12:13], v[12:13], -v[14:15]
	v_add_f64 v[162:163], v[162:163], v[166:167]
	v_fma_f64 v[160:161], v[152:153], s[20:21], v[156:157]
	v_add_f64 v[144:145], v[146:147], v[20:21]
	v_fma_f64 v[98:99], v[152:153], s[20:21], v[150:151]
	v_fma_f64 v[166:167], v[0:1], s[16:17], v[172:173]
	v_add_f64 v[14:15], v[2:3], -v[16:17]
	v_add_f64 v[146:147], v[154:155], v[22:23]
	v_add_f64 v[20:21], v[22:23], -v[18:19]
	v_fma_f64 v[156:157], v[162:163], s[20:21], v[4:5]
	v_fma_f64 v[4:5], v[164:165], -0.5, v[6:7]
	v_fma_f64 v[152:153], v[162:163], s[20:21], v[158:159]
	v_add_f64 v[150:151], v[8:9], v[24:25]
	v_fma_f64 v[154:155], v[0:1], s[8:9], v[172:173]
	v_add_f64 v[158:159], v[170:171], v[176:177]
	v_add_f64 v[2:3], v[16:17], -v[2:3]
	v_add_f64 v[16:17], v[18:19], -v[22:23]
	v_fma_f64 v[6:7], v[12:13], s[18:19], v[166:167]
	v_fma_f64 v[162:163], v[12:13], s[8:9], v[4:5]
	v_fma_f64 v[4:5], v[12:13], s[16:17], v[4:5]
	v_add_f64 v[14:15], v[14:15], v[20:21]
	v_add_f64 v[18:19], v[150:151], v[170:171]
	v_fma_f64 v[12:13], v[12:13], s[10:11], v[154:155]
	v_fma_f64 v[20:21], v[158:159], -0.5, v[8:9]
	v_add_f64 v[22:23], v[26:27], -v[194:195]
	v_add_f64 v[2:3], v[2:3], v[16:17]
	v_fma_f64 v[154:155], v[0:1], s[18:19], v[162:163]
	v_fma_f64 v[0:1], v[0:1], s[10:11], v[4:5]
	v_add_f64 v[4:5], v[24:25], v[168:169]
	v_add_f64 v[16:17], v[18:19], v[176:177]
	v_fma_f64 v[162:163], v[14:15], s[20:21], v[12:13]
	v_add_f64 v[12:13], v[192:193], -v[178:179]
	v_fma_f64 v[100:101], v[14:15], s[20:21], v[6:7]
	v_fma_f64 v[6:7], v[22:23], s[8:9], v[20:21]
	;; [unrolled: 1-line block ×4, first 2 shown]
	v_fma_f64 v[0:1], v[4:5], -0.5, v[8:9]
	v_add_f64 v[2:3], v[24:25], -v[170:171]
	v_add_f64 v[4:5], v[168:169], -v[176:177]
	v_fma_f64 v[8:9], v[22:23], s[16:17], v[20:21]
	v_add_f64 v[164:165], v[16:17], v[168:169]
	v_add_f64 v[14:15], v[10:11], v[26:27]
	;; [unrolled: 1-line block ×3, first 2 shown]
	v_add_f64 v[20:21], v[170:171], -v[24:25]
	v_fma_f64 v[18:19], v[12:13], s[16:17], v[0:1]
	v_add_f64 v[166:167], v[176:177], -v[168:169]
	v_add_f64 v[2:3], v[2:3], v[4:5]
	v_fma_f64 v[4:5], v[12:13], s[18:19], v[8:9]
	v_fma_f64 v[0:1], v[12:13], s[8:9], v[0:1]
	;; [unrolled: 1-line block ×3, first 2 shown]
	v_add_f64 v[8:9], v[14:15], v[192:193]
	v_fma_f64 v[12:13], v[16:17], -0.5, v[10:11]
	v_add_f64 v[14:15], v[24:25], -v[168:169]
	v_fma_f64 v[16:17], v[22:23], s[10:11], v[18:19]
	v_add_f64 v[18:19], v[20:21], v[166:167]
	v_fma_f64 v[172:173], v[2:3], s[20:21], v[4:5]
	v_fma_f64 v[0:1], v[22:23], s[18:19], v[0:1]
	v_add_f64 v[4:5], v[26:27], v[194:195]
	v_fma_f64 v[168:169], v[2:3], s[20:21], v[6:7]
	v_add_f64 v[2:3], v[8:9], v[178:179]
	v_fma_f64 v[6:7], v[14:15], s[16:17], v[12:13]
	v_add_f64 v[8:9], v[170:171], -v[176:177]
	v_fma_f64 v[176:177], v[18:19], s[20:21], v[16:17]
	v_add_f64 v[16:17], v[200:201], v[204:205]
	v_add_f64 v[20:21], v[26:27], -v[192:193]
	v_add_f64 v[22:23], v[194:195], -v[178:179]
	v_fma_f64 v[180:181], v[18:19], s[20:21], v[0:1]
	v_fma_f64 v[0:1], v[4:5], -0.5, v[10:11]
	v_add_f64 v[166:167], v[2:3], v[194:195]
	v_fma_f64 v[2:3], v[8:9], s[18:19], v[6:7]
	v_add_f64 v[4:5], v[184:185], v[196:197]
	v_fma_f64 v[6:7], v[16:17], -0.5, v[184:185]
	v_add_f64 v[10:11], v[198:199], -v[190:191]
	v_add_f64 v[16:17], v[20:21], v[22:23]
	v_fma_f64 v[12:13], v[14:15], s[8:9], v[12:13]
	v_fma_f64 v[18:19], v[8:9], s[8:9], v[0:1]
	v_add_f64 v[20:21], v[192:193], -v[26:27]
	v_add_f64 v[22:23], v[178:179], -v[194:195]
	v_fma_f64 v[0:1], v[8:9], s[16:17], v[0:1]
	v_add_f64 v[4:5], v[4:5], v[200:201]
	v_fma_f64 v[24:25], v[10:11], s[8:9], v[6:7]
	v_add_f64 v[26:27], v[202:203], -v[206:207]
	v_add_f64 v[170:171], v[196:197], -v[200:201]
	;; [unrolled: 1-line block ×3, first 2 shown]
	v_fma_f64 v[8:9], v[8:9], s[10:11], v[12:13]
	v_add_f64 v[12:13], v[196:197], v[208:209]
	v_add_f64 v[20:21], v[20:21], v[22:23]
	v_fma_f64 v[0:1], v[14:15], s[10:11], v[0:1]
	v_fma_f64 v[18:19], v[14:15], s[18:19], v[18:19]
	v_add_f64 v[4:5], v[4:5], v[204:205]
	v_fma_f64 v[14:15], v[26:27], s[10:11], v[24:25]
	v_add_f64 v[22:23], v[170:171], v[174:175]
	v_fma_f64 v[170:171], v[16:17], s[20:21], v[2:3]
	v_fma_f64 v[2:3], v[12:13], -0.5, v[184:185]
	v_add_f64 v[12:13], v[198:199], v[190:191]
	v_fma_f64 v[182:183], v[20:21], s[20:21], v[0:1]
	v_add_f64 v[0:1], v[202:203], v[206:207]
	v_fma_f64 v[174:175], v[16:17], s[20:21], v[8:9]
	v_fma_f64 v[178:179], v[20:21], s[20:21], v[18:19]
	v_add_f64 v[184:185], v[4:5], v[208:209]
	v_fma_f64 v[188:189], v[22:23], s[20:21], v[14:15]
	v_fma_f64 v[4:5], v[10:11], s[16:17], v[6:7]
	v_add_f64 v[8:9], v[200:201], -v[196:197]
	v_add_f64 v[14:15], v[204:205], -v[208:209]
	v_add_f64 v[16:17], v[186:187], v[198:199]
	v_fma_f64 v[0:1], v[0:1], -0.5, v[186:187]
	v_add_f64 v[18:19], v[196:197], -v[208:209]
	v_add_f64 v[20:21], v[200:201], -v[204:205]
	v_fma_f64 v[12:13], v[12:13], -0.5, v[186:187]
	v_fma_f64 v[6:7], v[26:27], s[16:17], v[2:3]
	v_fma_f64 v[4:5], v[26:27], s[18:19], v[4:5]
	v_add_f64 v[8:9], v[8:9], v[14:15]
	v_fma_f64 v[2:3], v[26:27], s[8:9], v[2:3]
	v_add_f64 v[14:15], v[16:17], v[202:203]
	v_fma_f64 v[16:17], v[18:19], s[16:17], v[0:1]
	v_add_f64 v[24:25], v[198:199], -v[202:203]
	v_add_f64 v[26:27], v[190:191], -v[206:207]
	v_fma_f64 v[0:1], v[18:19], s[8:9], v[0:1]
	v_fma_f64 v[186:187], v[20:21], s[8:9], v[12:13]
	v_add_f64 v[192:193], v[202:203], -v[198:199]
	v_add_f64 v[194:195], v[206:207], -v[190:191]
	v_fma_f64 v[12:13], v[20:21], s[16:17], v[12:13]
	v_fma_f64 v[6:7], v[10:11], s[10:11], v[6:7]
	;; [unrolled: 1-line block ×3, first 2 shown]
	v_add_f64 v[10:11], v[14:15], v[206:207]
	v_fma_f64 v[14:15], v[20:21], s[18:19], v[16:17]
	v_add_f64 v[16:17], v[24:25], v[26:27]
	v_fma_f64 v[0:1], v[20:21], s[10:11], v[0:1]
	v_fma_f64 v[20:21], v[18:19], s[18:19], v[186:187]
	v_add_f64 v[24:25], v[192:193], v[194:195]
	v_fma_f64 v[12:13], v[18:19], s[10:11], v[12:13]
	v_fma_f64 v[200:201], v[22:23], s[20:21], v[4:5]
	;; [unrolled: 1-line block ×4, first 2 shown]
	v_add_f64 v[186:187], v[10:11], v[190:191]
	v_fma_f64 v[190:191], v[16:17], s[20:21], v[14:15]
	v_fma_f64 v[202:203], v[16:17], s[20:21], v[0:1]
	v_fma_f64 v[194:195], v[24:25], s[20:21], v[20:21]
	v_fma_f64 v[198:199], v[24:25], s[20:21], v[12:13]
	ds_write_b128 v97, v[144:147]
	ds_write_b128 v240, v[98:101] offset:4080
	ds_write_b128 v240, v[152:155] offset:8160
	;; [unrolled: 1-line block ×14, first 2 shown]
	s_waitcnt vmcnt(0) lgkmcnt(0)
	s_barrier
	s_and_saveexec_b64 s[2:3], s[0:1]
	s_cbranch_execz .LBB0_9
; %bb.8:
	v_add_co_u32_e32 v0, vcc, s12, v237
	v_mov_b32_e32 v1, s13
	v_addc_co_u32_e32 v1, vcc, 0, v1, vcc
	v_add_co_u32_e32 v10, vcc, 0x4fb0, v0
	v_addc_co_u32_e32 v11, vcc, 0, v1, vcc
	v_add_co_u32_e32 v6, vcc, 0x4000, v0
	v_addc_co_u32_e32 v7, vcc, 0, v1, vcc
	global_load_dwordx4 v[6:9], v[6:7], off offset:4016
	ds_read_b128 v[2:5], v97
	s_movk_i32 s8, 0x6000
	s_waitcnt vmcnt(0) lgkmcnt(0)
	v_mul_f64 v[12:13], v[4:5], v[8:9]
	v_fma_f64 v[204:205], v[2:3], v[6:7], -v[12:13]
	v_mul_f64 v[2:3], v[2:3], v[8:9]
	v_fma_f64 v[206:207], v[4:5], v[6:7], v[2:3]
	global_load_dwordx4 v[6:9], v[10:11], off offset:1200
	ds_write_b128 v97, v[204:207]
	ds_read_b128 v[2:5], v240 offset:1200
	s_waitcnt vmcnt(0) lgkmcnt(0)
	v_mul_f64 v[12:13], v[4:5], v[8:9]
	v_fma_f64 v[204:205], v[2:3], v[6:7], -v[12:13]
	v_mul_f64 v[2:3], v[2:3], v[8:9]
	v_fma_f64 v[206:207], v[4:5], v[6:7], v[2:3]
	global_load_dwordx4 v[6:9], v[10:11], off offset:2400
	ds_read_b128 v[2:5], v240 offset:2400
	ds_write_b128 v240, v[204:207] offset:1200
	s_waitcnt vmcnt(0) lgkmcnt(1)
	v_mul_f64 v[12:13], v[4:5], v[8:9]
	v_fma_f64 v[204:205], v[2:3], v[6:7], -v[12:13]
	v_mul_f64 v[2:3], v[2:3], v[8:9]
	v_fma_f64 v[206:207], v[4:5], v[6:7], v[2:3]
	global_load_dwordx4 v[6:9], v[10:11], off offset:3600
	ds_read_b128 v[2:5], v240 offset:3600
	ds_write_b128 v240, v[204:207] offset:2400
	s_waitcnt vmcnt(0) lgkmcnt(1)
	v_mul_f64 v[10:11], v[4:5], v[8:9]
	v_fma_f64 v[204:205], v[2:3], v[6:7], -v[10:11]
	v_mul_f64 v[2:3], v[2:3], v[8:9]
	v_add_co_u32_e32 v10, vcc, s8, v0
	v_addc_co_u32_e32 v11, vcc, 0, v1, vcc
	s_movk_i32 s8, 0x7000
	v_fma_f64 v[206:207], v[4:5], v[6:7], v[2:3]
	global_load_dwordx4 v[6:9], v[10:11], off offset:624
	ds_read_b128 v[2:5], v240 offset:4800
	ds_write_b128 v240, v[204:207] offset:3600
	s_waitcnt vmcnt(0) lgkmcnt(1)
	v_mul_f64 v[12:13], v[4:5], v[8:9]
	v_fma_f64 v[204:205], v[2:3], v[6:7], -v[12:13]
	v_mul_f64 v[2:3], v[2:3], v[8:9]
	v_fma_f64 v[206:207], v[4:5], v[6:7], v[2:3]
	global_load_dwordx4 v[6:9], v[10:11], off offset:1824
	ds_read_b128 v[2:5], v240 offset:6000
	ds_write_b128 v240, v[204:207] offset:4800
	s_waitcnt vmcnt(0) lgkmcnt(1)
	v_mul_f64 v[12:13], v[4:5], v[8:9]
	v_fma_f64 v[204:205], v[2:3], v[6:7], -v[12:13]
	v_mul_f64 v[2:3], v[2:3], v[8:9]
	;; [unrolled: 8-line block ×3, first 2 shown]
	v_add_co_u32_e32 v10, vcc, s8, v0
	v_addc_co_u32_e32 v11, vcc, 0, v1, vcc
	s_mov_b32 s8, 0x8000
	v_fma_f64 v[206:207], v[4:5], v[6:7], v[2:3]
	global_load_dwordx4 v[6:9], v[10:11], off offset:128
	ds_read_b128 v[2:5], v240 offset:8400
	ds_write_b128 v240, v[204:207] offset:7200
	s_waitcnt vmcnt(0) lgkmcnt(1)
	v_mul_f64 v[12:13], v[4:5], v[8:9]
	v_fma_f64 v[204:205], v[2:3], v[6:7], -v[12:13]
	v_mul_f64 v[2:3], v[2:3], v[8:9]
	v_fma_f64 v[206:207], v[4:5], v[6:7], v[2:3]
	global_load_dwordx4 v[6:9], v[10:11], off offset:1328
	ds_read_b128 v[2:5], v240 offset:9600
	ds_write_b128 v240, v[204:207] offset:8400
	s_waitcnt vmcnt(0) lgkmcnt(1)
	v_mul_f64 v[12:13], v[4:5], v[8:9]
	v_fma_f64 v[204:205], v[2:3], v[6:7], -v[12:13]
	v_mul_f64 v[2:3], v[2:3], v[8:9]
	;; [unrolled: 8-line block ×4, first 2 shown]
	v_add_co_u32_e32 v10, vcc, s8, v0
	v_addc_co_u32_e32 v11, vcc, 0, v1, vcc
	s_mov_b32 s8, 0x9000
	v_fma_f64 v[206:207], v[4:5], v[6:7], v[2:3]
	global_load_dwordx4 v[6:9], v[10:11], off offset:832
	ds_read_b128 v[2:5], v240 offset:13200
	ds_write_b128 v240, v[204:207] offset:12000
	s_waitcnt vmcnt(0) lgkmcnt(1)
	v_mul_f64 v[12:13], v[4:5], v[8:9]
	v_fma_f64 v[204:205], v[2:3], v[6:7], -v[12:13]
	v_mul_f64 v[2:3], v[2:3], v[8:9]
	v_fma_f64 v[206:207], v[4:5], v[6:7], v[2:3]
	global_load_dwordx4 v[6:9], v[10:11], off offset:2032
	ds_read_b128 v[2:5], v240 offset:14400
	ds_write_b128 v240, v[204:207] offset:13200
	s_waitcnt vmcnt(0) lgkmcnt(1)
	v_mul_f64 v[12:13], v[4:5], v[8:9]
	v_fma_f64 v[204:205], v[2:3], v[6:7], -v[12:13]
	v_mul_f64 v[2:3], v[2:3], v[8:9]
	v_add_co_u32_e32 v12, vcc, s8, v0
	v_addc_co_u32_e32 v13, vcc, 0, v1, vcc
	v_fma_f64 v[206:207], v[4:5], v[6:7], v[2:3]
	global_load_dwordx4 v[6:9], v[10:11], off offset:3232
	ds_read_b128 v[2:5], v240 offset:15600
	ds_write_b128 v240, v[204:207] offset:14400
	s_waitcnt vmcnt(0) lgkmcnt(1)
	v_mul_f64 v[10:11], v[4:5], v[8:9]
	v_fma_f64 v[204:205], v[2:3], v[6:7], -v[10:11]
	v_mul_f64 v[2:3], v[2:3], v[8:9]
	v_fma_f64 v[206:207], v[4:5], v[6:7], v[2:3]
	global_load_dwordx4 v[6:9], v[12:13], off offset:336
	ds_read_b128 v[2:5], v240 offset:16800
	ds_write_b128 v240, v[204:207] offset:15600
	s_waitcnt vmcnt(0) lgkmcnt(1)
	v_mul_f64 v[0:1], v[4:5], v[8:9]
	v_fma_f64 v[0:1], v[2:3], v[6:7], -v[0:1]
	v_mul_f64 v[2:3], v[2:3], v[8:9]
	v_fma_f64 v[2:3], v[4:5], v[6:7], v[2:3]
	global_load_dwordx4 v[4:7], v[12:13], off offset:1536
	ds_write_b128 v240, v[0:3] offset:16800
	ds_read_b128 v[0:3], v240 offset:18000
	s_waitcnt vmcnt(0) lgkmcnt(0)
	v_mul_f64 v[8:9], v[2:3], v[6:7]
	v_fma_f64 v[8:9], v[0:1], v[4:5], -v[8:9]
	v_mul_f64 v[0:1], v[0:1], v[6:7]
	v_fma_f64 v[10:11], v[2:3], v[4:5], v[0:1]
	global_load_dwordx4 v[4:7], v[12:13], off offset:2736
	ds_read_b128 v[0:3], v240 offset:19200
	ds_write_b128 v240, v[8:11] offset:18000
	s_waitcnt vmcnt(0) lgkmcnt(1)
	v_mul_f64 v[8:9], v[2:3], v[6:7]
	v_fma_f64 v[8:9], v[0:1], v[4:5], -v[8:9]
	v_mul_f64 v[0:1], v[0:1], v[6:7]
	v_fma_f64 v[10:11], v[2:3], v[4:5], v[0:1]
	ds_write_b128 v240, v[8:11] offset:19200
.LBB0_9:
	s_or_b64 exec, exec, s[2:3]
	s_waitcnt lgkmcnt(0)
	s_barrier
	s_and_saveexec_b64 s[2:3], s[0:1]
	s_cbranch_execz .LBB0_11
; %bb.10:
	ds_read_b128 v[144:147], v97
	ds_read_b128 v[98:101], v97 offset:1200
	ds_read_b128 v[152:155], v97 offset:2400
	;; [unrolled: 1-line block ×16, first 2 shown]
.LBB0_11:
	s_or_b64 exec, exec, s[2:3]
	v_add_u32_e32 v103, 0x550, v240
	v_add_u32_e32 v102, 0xaa0, v240
	s_waitcnt lgkmcnt(0)
	s_barrier
	s_and_saveexec_b64 s[2:3], s[0:1]
	s_cbranch_execz .LBB0_13
; %bb.12:
	v_mov_b32_e32 v34, v247
	v_mov_b32_e32 v35, v248
	;; [unrolled: 1-line block ×4, first 2 shown]
	buffer_store_dword v238, off, s[64:67], 0 offset:148 ; 4-byte Folded Spill
	s_nop 0
	buffer_store_dword v239, off, s[64:67], 0 offset:152 ; 4-byte Folded Spill
	buffer_store_dword v239, off, s[64:67], 0 offset:156 ; 4-byte Folded Spill
	;; [unrolled: 1-line block ×5, first 2 shown]
	s_nop 0
	buffer_store_dword v79, off, s[64:67], 0 offset:336 ; 4-byte Folded Spill
	buffer_store_dword v80, off, s[64:67], 0 offset:340 ; 4-byte Folded Spill
	buffer_store_dword v81, off, s[64:67], 0 offset:344 ; 4-byte Folded Spill
	buffer_store_dword v251, off, s[64:67], 0 offset:288 ; 4-byte Folded Spill
	s_nop 0
	buffer_store_dword v252, off, s[64:67], 0 offset:292 ; 4-byte Folded Spill
	buffer_store_dword v253, off, s[64:67], 0 offset:296 ; 4-byte Folded Spill
	buffer_store_dword v254, off, s[64:67], 0 offset:300 ; 4-byte Folded Spill
	buffer_store_dword v74, off, s[64:67], 0 offset:316 ; 4-byte Folded Spill
	;; [unrolled: 5-line block ×3, first 2 shown]
	s_nop 0
	buffer_store_dword v35, off, s[64:67], 0 offset:356 ; 4-byte Folded Spill
	buffer_store_dword v36, off, s[64:67], 0 offset:360 ; 4-byte Folded Spill
	;; [unrolled: 1-line block ×3, first 2 shown]
	v_add_f64 v[8:9], v[98:99], -v[243:244]
	s_mov_b32 s18, 0xacd6c6b4
	v_add_f64 v[0:1], v[180:181], -v[172:173]
	s_mov_b32 s19, 0xbfc7851a
	v_add_f64 v[6:7], v[152:153], -v[247:248]
	v_add_f64 v[4:5], v[100:101], v[245:246]
	s_mov_b32 s52, 0xeb564b22
	s_mov_b32 s40, 0x5d8e7cdc
	v_mul_f64 v[14:15], v[8:9], s[18:19]
	s_mov_b32 s8, 0x7faef3
	s_mov_b32 s53, 0x3fefdd0d
	v_mov_b32_e32 v49, v1
	s_mov_b32 s41, 0x3fd71e95
	s_mov_b32 s9, 0xbfef7484
	v_mul_f64 v[12:13], v[0:1], s[52:53]
	v_mov_b32_e32 v48, v0
	v_add_f64 v[204:205], v[156:157], -v[200:201]
	v_mul_f64 v[16:17], v[6:7], s[40:41]
	v_add_f64 v[0:1], v[154:155], v[249:250]
	v_fma_f64 v[18:19], v[4:5], s[8:9], v[14:15]
	s_mov_b32 s24, 0x4363dd80
	s_mov_b32 s20, 0x370991
	s_mov_b32 s25, 0xbfe0d888
	s_mov_b32 s21, 0x3fedd6d0
	v_add_f64 v[10:11], v[160:161], -v[196:197]
	v_mul_f64 v[20:21], v[204:205], s[24:25]
	v_add_f64 v[2:3], v[158:159], v[202:203]
	v_fma_f64 v[22:23], v[0:1], s[20:21], v[16:17]
	v_add_f64 v[18:19], v[146:147], v[18:19]
	s_mov_b32 s48, 0x2a9d6da3
	s_mov_b32 s10, 0x910ea3b9
	s_mov_b32 s49, 0x3fe58eea
	s_mov_b32 s11, 0xbfeb34fa
	v_add_f64 v[238:239], v[164:165], -v[192:193]
	v_mul_f64 v[24:25], v[10:11], s[48:49]
	v_add_f64 v[253:254], v[162:163], v[198:199]
	v_fma_f64 v[26:27], v[2:3], s[10:11], v[20:21]
	v_add_f64 v[18:19], v[22:23], v[18:19]
	;; [unrolled: 9-line block ×3, first 2 shown]
	s_mov_b32 s44, 0x7c9e640b
	s_mov_b32 s16, 0x6ed5f1bb
	v_add_f64 v[30:31], v[176:177], -v[184:185]
	s_mov_b32 s45, 0x3feca52d
	s_mov_b32 s17, 0xbfe348c8
	buffer_store_dword v210, off, s[64:67], 0 offset:192 ; 4-byte Folded Spill
	s_nop 0
	buffer_store_dword v211, off, s[64:67], 0 offset:196 ; 4-byte Folded Spill
	buffer_store_dword v212, off, s[64:67], 0 offset:200 ; 4-byte Folded Spill
	;; [unrolled: 1-line block ×3, first 2 shown]
	v_mul_f64 v[26:27], v[28:29], s[44:45]
	v_add_f64 v[249:250], v[170:171], v[190:191]
	v_fma_f64 v[208:209], v[251:252], s[16:17], v[22:23]
	v_add_f64 v[18:19], v[206:207], v[18:19]
	v_add_f64 v[212:213], v[100:101], -v[245:246]
	s_mov_b32 s28, 0x923c349f
	s_mov_b32 s36, 0x2b2883cd
	v_mov_b32_e32 v67, v29
	s_mov_b32 s29, 0xbfeec746
	v_mov_b32_e32 v51, v31
	s_mov_b32 s37, 0x3fdc86fa
	buffer_store_dword v222, off, s[64:67], 0 offset:240 ; 4-byte Folded Spill
	s_nop 0
	buffer_store_dword v223, off, s[64:67], 0 offset:244 ; 4-byte Folded Spill
	buffer_store_dword v224, off, s[64:67], 0 offset:248 ; 4-byte Folded Spill
	;; [unrolled: 1-line block ×3, first 2 shown]
	v_mov_b32_e32 v66, v28
	v_mul_f64 v[28:29], v[30:31], s[28:29]
	v_mov_b32_e32 v50, v30
	v_fma_f64 v[30:31], v[249:250], s[36:37], v[26:27]
	v_add_f64 v[18:19], v[208:209], v[18:19]
	v_add_f64 v[206:207], v[98:99], v[243:244]
	v_mul_f64 v[222:223], v[212:213], s[18:19]
	buffer_store_dword v214, off, s[64:67], 0 offset:208 ; 4-byte Folded Spill
	s_nop 0
	buffer_store_dword v215, off, s[64:67], 0 offset:212 ; 4-byte Folded Spill
	buffer_store_dword v216, off, s[64:67], 0 offset:216 ; 4-byte Folded Spill
	;; [unrolled: 1-line block ×4, first 2 shown]
	s_nop 0
	buffer_store_dword v219, off, s[64:67], 0 offset:228 ; 4-byte Folded Spill
	buffer_store_dword v220, off, s[64:67], 0 offset:232 ; 4-byte Folded Spill
	;; [unrolled: 1-line block ×3, first 2 shown]
	v_add_f64 v[218:219], v[158:159], -v[202:203]
	v_fma_f64 v[14:15], v[4:5], s[8:9], -v[14:15]
	v_add_f64 v[208:209], v[154:155], -v[36:37]
	v_add_f64 v[18:19], v[30:31], v[18:19]
	v_add_f64 v[210:211], v[152:153], v[34:35]
	v_fma_f64 v[34:35], v[206:207], s[8:9], -v[222:223]
	buffer_store_dword v230, off, s[64:67], 0 offset:272 ; 4-byte Folded Spill
	s_nop 0
	buffer_store_dword v231, off, s[64:67], 0 offset:276 ; 4-byte Folded Spill
	buffer_store_dword v232, off, s[64:67], 0 offset:280 ; 4-byte Folded Spill
	;; [unrolled: 1-line block ×4, first 2 shown]
	s_nop 0
	buffer_store_dword v227, off, s[64:67], 0 offset:260 ; 4-byte Folded Spill
	buffer_store_dword v228, off, s[64:67], 0 offset:264 ; 4-byte Folded Spill
	;; [unrolled: 1-line block ×3, first 2 shown]
	v_add_f64 v[230:231], v[162:163], -v[198:199]
	v_add_f64 v[214:215], v[156:157], v[200:201]
	v_mul_f64 v[30:31], v[208:209], s[40:41]
	v_mul_f64 v[224:225], v[218:219], s[24:25]
	v_fma_f64 v[16:17], v[0:1], s[20:21], -v[16:17]
	v_add_f64 v[34:35], v[144:145], v[34:35]
	v_add_f64 v[14:15], v[146:147], v[14:15]
	v_fma_f64 v[222:223], v[206:207], s[8:9], v[222:223]
	v_add_f64 v[236:237], v[166:167], -v[194:195]
	buffer_store_dword v234, off, s[64:67], 0 offset:304 ; 4-byte Folded Spill
	buffer_store_dword v235, off, s[64:67], 0 offset:308 ; 4-byte Folded Spill
	v_fma_f64 v[226:227], v[210:211], s[20:21], -v[30:31]
	v_add_f64 v[234:235], v[160:161], v[196:197]
	v_mul_f64 v[36:37], v[230:231], s[48:49]
	v_fma_f64 v[38:39], v[214:215], s[10:11], -v[224:225]
	v_fma_f64 v[20:21], v[2:3], s[10:11], -v[20:21]
	v_add_f64 v[14:15], v[16:17], v[14:15]
	v_fma_f64 v[16:17], v[210:211], s[20:21], v[30:31]
	v_add_f64 v[30:31], v[144:145], v[222:223]
	v_add_f64 v[34:35], v[226:227], v[34:35]
	v_add_f64 v[232:233], v[170:171], -v[190:191]
	v_add_f64 v[228:229], v[164:165], v[192:193]
	v_mul_f64 v[226:227], v[236:237], s[26:27]
	v_fma_f64 v[222:223], v[234:235], s[22:23], -v[36:37]
	v_fma_f64 v[24:25], v[253:254], s[22:23], -v[24:25]
	v_add_f64 v[14:15], v[20:21], v[14:15]
	v_fma_f64 v[20:21], v[214:215], s[10:11], v[224:225]
	v_add_f64 v[34:35], v[38:39], v[34:35]
	v_add_f64 v[16:17], v[16:17], v[30:31]
	v_add_f64 v[220:221], v[178:179], -v[186:187]
	v_add_f64 v[224:225], v[168:169], v[188:189]
	v_mul_f64 v[30:31], v[232:233], s[44:45]
	v_fma_f64 v[38:39], v[228:229], s[16:17], -v[226:227]
	v_fma_f64 v[22:23], v[251:252], s[16:17], -v[22:23]
	v_add_f64 v[14:15], v[24:25], v[14:15]
	v_add_f64 v[34:35], v[222:223], v[34:35]
	v_fma_f64 v[24:25], v[234:235], s[22:23], v[36:37]
	v_add_f64 v[16:17], v[20:21], v[16:17]
	v_add_f64 v[247:248], v[178:179], v[186:187]
	v_add_f64 v[216:217], v[182:183], -v[174:175]
	v_add_f64 v[222:223], v[176:177], v[184:185]
	v_mul_f64 v[20:21], v[220:221], s[28:29]
	v_fma_f64 v[36:37], v[224:225], s[36:37], -v[30:31]
	v_add_f64 v[34:35], v[38:39], v[34:35]
	v_fma_f64 v[26:27], v[249:250], s[36:37], -v[26:27]
	v_add_f64 v[14:15], v[22:23], v[14:15]
	v_fma_f64 v[22:23], v[228:229], s[16:17], v[226:227]
	v_add_f64 v[16:17], v[24:25], v[16:17]
	s_mov_b32 s30, 0xc61f0d01
	s_mov_b32 s31, 0xbfd183b1
	v_add_f64 v[241:242], v[182:183], v[174:175]
	v_fma_f64 v[32:33], v[247:248], s[30:31], v[28:29]
	v_add_f64 v[226:227], v[180:181], v[172:173]
	v_mul_f64 v[24:25], v[216:217], s[52:53]
	v_fma_f64 v[38:39], v[222:223], s[30:31], -v[20:21]
	v_add_f64 v[34:35], v[36:37], v[34:35]
	v_fma_f64 v[28:29], v[247:248], s[30:31], -v[28:29]
	v_add_f64 v[14:15], v[26:27], v[14:15]
	v_fma_f64 v[26:27], v[224:225], s[36:37], v[30:31]
	v_add_f64 v[16:17], v[22:23], v[16:17]
	s_mov_b32 s34, 0x3259b75e
	s_mov_b32 s35, 0x3fb79ee6
	v_fma_f64 v[22:23], v[241:242], s[34:35], v[12:13]
	v_add_f64 v[18:19], v[32:33], v[18:19]
	v_fma_f64 v[30:31], v[226:227], s[34:35], -v[24:25]
	v_add_f64 v[32:33], v[38:39], v[34:35]
	v_fma_f64 v[12:13], v[241:242], s[34:35], -v[12:13]
	v_add_f64 v[14:15], v[28:29], v[14:15]
	v_fma_f64 v[20:21], v[222:223], s[30:31], v[20:21]
	v_add_f64 v[16:17], v[26:27], v[16:17]
	s_mov_b32 s43, 0xbfefdd0d
	v_add_f64 v[34:35], v[22:23], v[18:19]
	s_mov_b32 s42, s52
	v_add_f64 v[32:33], v[30:31], v[32:33]
	buffer_store_dword v32, off, s[64:67], 0 offset:368 ; 4-byte Folded Spill
	s_nop 0
	buffer_store_dword v33, off, s[64:67], 0 offset:372 ; 4-byte Folded Spill
	buffer_store_dword v34, off, s[64:67], 0 offset:376 ; 4-byte Folded Spill
	;; [unrolled: 1-line block ×3, first 2 shown]
	v_add_f64 v[64:65], v[12:13], v[14:15]
	v_add_f64 v[14:15], v[20:21], v[16:17]
	v_mul_f64 v[20:21], v[8:9], s[24:25]
	v_mul_f64 v[32:33], v[6:7], s[44:45]
	buffer_store_dword v40, off, s[64:67], 0 offset:160 ; 4-byte Folded Spill
	s_nop 0
	buffer_store_dword v41, off, s[64:67], 0 offset:164 ; 4-byte Folded Spill
	buffer_store_dword v42, off, s[64:67], 0 offset:168 ; 4-byte Folded Spill
	buffer_store_dword v43, off, s[64:67], 0 offset:172 ; 4-byte Folded Spill
	v_mul_f64 v[38:39], v[212:213], s[24:25]
	v_mul_f64 v[40:41], v[204:205], s[42:43]
	v_mov_b32_e32 v59, v49
	s_mov_b32 s57, 0x3fe9895b
	s_mov_b32 s56, s26
	v_fma_f64 v[34:35], v[4:5], s[10:11], v[20:21]
	v_fma_f64 v[42:43], v[0:1], s[36:37], v[32:33]
	v_fma_f64 v[20:21], v[4:5], s[10:11], -v[20:21]
	buffer_store_dword v44, off, s[64:67], 0 offset:176 ; 4-byte Folded Spill
	s_nop 0
	buffer_store_dword v45, off, s[64:67], 0 offset:180 ; 4-byte Folded Spill
	buffer_store_dword v46, off, s[64:67], 0 offset:184 ; 4-byte Folded Spill
	;; [unrolled: 1-line block ×3, first 2 shown]
	v_mov_b32_e32 v58, v48
	v_mul_f64 v[36:37], v[10:11], s[56:57]
	v_mul_f64 v[46:47], v[208:209], s[44:45]
	v_fma_f64 v[48:49], v[206:207], s[10:11], -v[38:39]
	v_add_f64 v[34:35], v[146:147], v[34:35]
	v_fma_f64 v[52:53], v[2:3], s[34:35], v[40:41]
	v_fma_f64 v[32:33], v[0:1], s[36:37], -v[32:33]
	v_add_f64 v[20:21], v[146:147], v[20:21]
	v_mov_b32_e32 v61, v51
	s_mov_b32 s39, 0xbfd71e95
	s_mov_b32 s38, s40
	v_mov_b32_e32 v60, v50
	v_add_f64 v[34:35], v[42:43], v[34:35]
	v_mul_f64 v[30:31], v[238:239], s[38:39]
	v_fma_f64 v[50:51], v[253:254], s[16:17], v[36:37]
	v_fma_f64 v[38:39], v[206:207], s[10:11], v[38:39]
	v_mul_f64 v[42:43], v[218:219], s[42:43]
	v_fma_f64 v[54:55], v[210:211], s[36:37], -v[46:47]
	v_add_f64 v[48:49], v[144:145], v[48:49]
	v_fma_f64 v[40:41], v[2:3], s[34:35], -v[40:41]
	v_add_f64 v[34:35], v[52:53], v[34:35]
	v_add_f64 v[20:21], v[32:33], v[20:21]
	v_mul_f64 v[22:23], v[66:67], s[18:19]
	v_fma_f64 v[44:45], v[251:252], s[20:21], v[30:31]
	v_fma_f64 v[46:47], v[210:211], s[36:37], v[46:47]
	v_add_f64 v[38:39], v[144:145], v[38:39]
	v_mul_f64 v[52:53], v[230:231], s[56:57]
	v_fma_f64 v[56:57], v[214:215], s[34:35], -v[42:43]
	v_add_f64 v[48:49], v[54:55], v[48:49]
	v_add_f64 v[34:35], v[50:51], v[34:35]
	v_fma_f64 v[36:37], v[253:254], s[16:17], -v[36:37]
	v_add_f64 v[20:21], v[40:41], v[20:21]
	v_mul_f64 v[18:19], v[60:61], s[48:49]
	v_fma_f64 v[28:29], v[249:250], s[8:9], v[22:23]
	v_fma_f64 v[32:33], v[214:215], s[34:35], v[42:43]
	v_add_f64 v[38:39], v[46:47], v[38:39]
	v_mul_f64 v[42:43], v[236:237], s[38:39]
	v_fma_f64 v[46:47], v[234:235], s[16:17], -v[52:53]
	v_add_f64 v[48:49], v[56:57], v[48:49]
	v_add_f64 v[34:35], v[44:45], v[34:35]
	v_fma_f64 v[30:31], v[251:252], s[20:21], -v[30:31]
	v_add_f64 v[20:21], v[36:37], v[20:21]
	v_fma_f64 v[12:13], v[226:227], s[34:35], v[24:25]
	v_fma_f64 v[24:25], v[247:248], s[22:23], v[18:19]
	;; [unrolled: 1-line block ×3, first 2 shown]
	v_add_f64 v[32:33], v[32:33], v[38:39]
	v_mul_f64 v[38:39], v[232:233], s[18:19]
	v_fma_f64 v[44:45], v[228:229], s[20:21], -v[42:43]
	v_add_f64 v[46:47], v[46:47], v[48:49]
	v_add_f64 v[28:29], v[28:29], v[34:35]
	v_fma_f64 v[22:23], v[249:250], s[8:9], -v[22:23]
	v_add_f64 v[20:21], v[30:31], v[20:21]
	v_fma_f64 v[36:37], v[228:229], s[20:21], v[42:43]
	v_add_f64 v[32:33], v[40:41], v[32:33]
	v_mul_f64 v[34:35], v[220:221], s[48:49]
	v_fma_f64 v[40:41], v[224:225], s[8:9], -v[38:39]
	v_add_f64 v[42:43], v[44:45], v[46:47]
	v_add_f64 v[24:25], v[24:25], v[28:29]
	v_mul_f64 v[28:29], v[216:217], s[28:29]
	v_fma_f64 v[18:19], v[247:248], s[22:23], -v[18:19]
	v_add_f64 v[20:21], v[22:23], v[20:21]
	v_mul_f64 v[26:27], v[58:59], s[28:29]
	v_fma_f64 v[30:31], v[224:225], s[8:9], v[38:39]
	v_add_f64 v[32:33], v[36:37], v[32:33]
	v_fma_f64 v[36:37], v[222:223], s[22:23], -v[34:35]
	v_add_f64 v[38:39], v[40:41], v[42:43]
	v_fma_f64 v[22:23], v[222:223], s[22:23], v[34:35]
	v_add_f64 v[62:63], v[12:13], v[14:15]
	v_fma_f64 v[12:13], v[226:227], s[30:31], -v[28:29]
	v_add_f64 v[18:19], v[18:19], v[20:21]
	v_fma_f64 v[20:21], v[226:227], s[30:31], v[28:29]
	v_mul_f64 v[28:29], v[8:9], s[26:27]
	v_mul_f64 v[34:35], v[212:213], s[26:27]
	s_mov_b32 s55, 0x3feec746
	s_mov_b32 s54, s28
	v_fma_f64 v[16:17], v[241:242], s[30:31], v[26:27]
	v_add_f64 v[14:15], v[36:37], v[38:39]
	v_mul_f64 v[36:37], v[6:7], s[54:55]
	v_mul_f64 v[48:49], v[208:209], s[54:55]
	v_fma_f64 v[40:41], v[4:5], s[16:17], v[28:29]
	v_fma_f64 v[50:51], v[206:207], s[16:17], -v[34:35]
	v_fma_f64 v[28:29], v[4:5], s[16:17], -v[28:29]
	v_mov_b32_e32 v103, v59
	v_mov_b32_e32 v81, v61
	v_add_f64 v[76:77], v[16:17], v[24:25]
	v_fma_f64 v[16:17], v[241:242], s[30:31], -v[26:27]
	v_mul_f64 v[24:25], v[58:59], s[44:45]
	v_mov_b32_e32 v102, v58
	v_mul_f64 v[26:27], v[60:61], s[18:19]
	v_mov_b32_e32 v80, v60
	v_mul_f64 v[44:45], v[204:205], s[38:39]
	v_fma_f64 v[52:53], v[0:1], s[30:31], v[36:37]
	v_add_f64 v[40:41], v[146:147], v[40:41]
	v_mul_f64 v[58:59], v[218:219], s[38:39]
	v_fma_f64 v[60:61], v[210:211], s[30:31], -v[48:49]
	v_add_f64 v[50:51], v[144:145], v[50:51]
	v_fma_f64 v[36:37], v[0:1], s[30:31], -v[36:37]
	v_add_f64 v[28:29], v[146:147], v[28:29]
	buffer_store_dword v62, off, s[64:67], 0 offset:384 ; 4-byte Folded Spill
	s_nop 0
	buffer_store_dword v63, off, s[64:67], 0 offset:388 ; 4-byte Folded Spill
	buffer_store_dword v64, off, s[64:67], 0 offset:392 ; 4-byte Folded Spill
	buffer_store_dword v65, off, s[64:67], 0 offset:396 ; 4-byte Folded Spill
	v_mul_f64 v[54:55], v[10:11], s[24:25]
	v_fma_f64 v[56:57], v[2:3], s[20:21], v[44:45]
	v_add_f64 v[40:41], v[52:53], v[40:41]
	v_mul_f64 v[62:63], v[230:231], s[24:25]
	v_fma_f64 v[34:35], v[206:207], s[16:17], v[34:35]
	v_fma_f64 v[64:65], v[214:215], s[20:21], -v[58:59]
	v_add_f64 v[50:51], v[60:61], v[50:51]
	v_fma_f64 v[44:45], v[2:3], s[20:21], -v[44:45]
	v_add_f64 v[28:29], v[36:37], v[28:29]
	v_add_f64 v[30:31], v[30:31], v[32:33]
	v_mul_f64 v[32:33], v[238:239], s[52:53]
	v_fma_f64 v[52:53], v[253:254], s[10:11], v[54:55]
	v_add_f64 v[36:37], v[56:57], v[40:41]
	v_mul_f64 v[40:41], v[236:237], s[52:53]
	v_fma_f64 v[48:49], v[210:211], s[30:31], v[48:49]
	v_add_f64 v[34:35], v[144:145], v[34:35]
	v_fma_f64 v[56:57], v[234:235], s[10:11], -v[62:63]
	v_add_f64 v[50:51], v[64:65], v[50:51]
	v_fma_f64 v[54:55], v[253:254], s[10:11], -v[54:55]
	v_add_f64 v[28:29], v[44:45], v[28:29]
	s_mov_b32 s47, 0xbfe58eea
	s_mov_b32 s46, s48
	v_add_f64 v[22:23], v[22:23], v[30:31]
	v_mul_f64 v[30:31], v[66:67], s[46:47]
	v_fma_f64 v[46:47], v[251:252], s[34:35], v[32:33]
	v_add_f64 v[36:37], v[52:53], v[36:37]
	v_mul_f64 v[44:45], v[232:233], s[46:47]
	v_fma_f64 v[52:53], v[214:215], s[20:21], v[58:59]
	v_add_f64 v[34:35], v[48:49], v[34:35]
	v_fma_f64 v[48:49], v[228:229], s[34:35], -v[40:41]
	v_add_f64 v[50:51], v[56:57], v[50:51]
	v_fma_f64 v[32:33], v[251:252], s[34:35], -v[32:33]
	v_add_f64 v[28:29], v[54:55], v[28:29]
	v_fma_f64 v[42:43], v[249:250], s[22:23], v[30:31]
	v_add_f64 v[36:37], v[46:47], v[36:37]
	v_mul_f64 v[46:47], v[220:221], s[18:19]
	v_fma_f64 v[54:55], v[234:235], s[10:11], v[62:63]
	v_add_f64 v[34:35], v[52:53], v[34:35]
	v_fma_f64 v[52:53], v[224:225], s[22:23], -v[44:45]
	v_add_f64 v[48:49], v[48:49], v[50:51]
	v_fma_f64 v[30:31], v[249:250], s[22:23], -v[30:31]
	v_add_f64 v[28:29], v[32:33], v[28:29]
	;; [unrolled: 9-line block ×3, first 2 shown]
	v_add_f64 v[74:75], v[12:13], v[14:15]
	v_add_f64 v[18:19], v[16:17], v[18:19]
	;; [unrolled: 1-line block ×3, first 2 shown]
	v_fma_f64 v[30:31], v[241:242], s[36:37], v[24:25]
	v_add_f64 v[32:33], v[38:39], v[32:33]
	v_add_f64 v[34:35], v[40:41], v[34:35]
	v_fma_f64 v[40:41], v[226:227], s[36:37], -v[36:37]
	v_add_f64 v[42:43], v[42:43], v[48:49]
	v_fma_f64 v[24:25], v[241:242], s[36:37], -v[24:25]
	v_add_f64 v[26:27], v[26:27], v[28:29]
	v_mul_f64 v[20:21], v[8:9], s[28:29]
	buffer_store_dword v74, off, s[64:67], 0 offset:400 ; 4-byte Folded Spill
	s_nop 0
	buffer_store_dword v75, off, s[64:67], 0 offset:404 ; 4-byte Folded Spill
	buffer_store_dword v76, off, s[64:67], 0 offset:408 ; 4-byte Folded Spill
	;; [unrolled: 1-line block ×4, first 2 shown]
	s_nop 0
	buffer_store_dword v17, off, s[64:67], 0 offset:444 ; 4-byte Folded Spill
	buffer_store_dword v18, off, s[64:67], 0 offset:448 ; 4-byte Folded Spill
	;; [unrolled: 1-line block ×3, first 2 shown]
	v_add_f64 v[18:19], v[30:31], v[32:33]
	s_mov_b32 s59, 0x3fe0d888
	v_add_f64 v[16:17], v[40:41], v[42:43]
	s_mov_b32 s58, s24
	v_fma_f64 v[38:39], v[224:225], s[22:23], v[44:45]
	v_add_f64 v[52:53], v[24:25], v[26:27]
	v_mul_f64 v[22:23], v[212:213], s[28:29]
	v_mul_f64 v[24:25], v[6:7], s[58:59]
	v_fma_f64 v[28:29], v[4:5], s[30:31], v[20:21]
	v_fma_f64 v[20:21], v[4:5], s[30:31], -v[20:21]
	buffer_store_dword v16, off, s[64:67], 0 offset:416 ; 4-byte Folded Spill
	s_nop 0
	buffer_store_dword v17, off, s[64:67], 0 offset:420 ; 4-byte Folded Spill
	buffer_store_dword v18, off, s[64:67], 0 offset:424 ; 4-byte Folded Spill
	buffer_store_dword v19, off, s[64:67], 0 offset:428 ; 4-byte Folded Spill
	v_fma_f64 v[16:17], v[226:227], s[36:37], v[36:37]
	v_add_f64 v[14:15], v[38:39], v[34:35]
	v_mul_f64 v[30:31], v[208:209], s[58:59]
	v_fma_f64 v[32:33], v[206:207], s[30:31], -v[22:23]
	v_mul_f64 v[34:35], v[204:205], s[48:49]
	v_fma_f64 v[36:37], v[0:1], s[10:11], v[24:25]
	v_add_f64 v[28:29], v[146:147], v[28:29]
	v_fma_f64 v[24:25], v[0:1], s[10:11], -v[24:25]
	v_add_f64 v[20:21], v[146:147], v[20:21]
	s_mov_b32 s51, 0xbfeca52d
	s_mov_b32 s50, s44
	v_mul_f64 v[38:39], v[218:219], s[48:49]
	v_fma_f64 v[40:41], v[210:211], s[10:11], -v[30:31]
	v_add_f64 v[32:33], v[144:145], v[32:33]
	v_mul_f64 v[42:43], v[10:11], s[50:51]
	v_fma_f64 v[44:45], v[2:3], s[22:23], v[34:35]
	v_add_f64 v[28:29], v[36:37], v[28:29]
	v_fma_f64 v[34:35], v[2:3], s[22:23], -v[34:35]
	v_add_f64 v[20:21], v[24:25], v[20:21]
	v_fma_f64 v[12:13], v[222:223], s[8:9], v[46:47]
	v_mul_f64 v[36:37], v[230:231], s[50:51]
	v_fma_f64 v[46:47], v[214:215], s[22:23], -v[38:39]
	v_add_f64 v[32:33], v[40:41], v[32:33]
	v_mul_f64 v[40:41], v[238:239], s[18:19]
	v_fma_f64 v[48:49], v[253:254], s[36:37], v[42:43]
	v_add_f64 v[24:25], v[44:45], v[28:29]
	v_fma_f64 v[42:43], v[253:254], s[36:37], -v[42:43]
	v_add_f64 v[20:21], v[34:35], v[20:21]
	v_mul_f64 v[28:29], v[236:237], s[18:19]
	v_fma_f64 v[44:45], v[234:235], s[36:37], -v[36:37]
	v_add_f64 v[32:33], v[46:47], v[32:33]
	v_mul_f64 v[46:47], v[66:67], s[52:53]
	v_fma_f64 v[50:51], v[251:252], s[8:9], v[40:41]
	v_add_f64 v[24:25], v[48:49], v[24:25]
	v_fma_f64 v[40:41], v[251:252], s[8:9], -v[40:41]
	v_fma_f64 v[22:23], v[206:207], s[30:31], v[22:23]
	v_add_f64 v[20:21], v[42:43], v[20:21]
	v_mul_f64 v[18:19], v[80:81], s[38:39]
	v_mul_f64 v[34:35], v[232:233], s[52:53]
	v_fma_f64 v[48:49], v[228:229], s[8:9], -v[28:29]
	v_add_f64 v[32:33], v[44:45], v[32:33]
	v_fma_f64 v[44:45], v[249:250], s[34:35], v[46:47]
	v_add_f64 v[24:25], v[50:51], v[24:25]
	v_fma_f64 v[46:47], v[249:250], s[34:35], -v[46:47]
	v_fma_f64 v[30:31], v[210:211], s[10:11], v[30:31]
	v_add_f64 v[22:23], v[144:145], v[22:23]
	v_add_f64 v[20:21], v[40:41], v[20:21]
	;; [unrolled: 1-line block ×3, first 2 shown]
	v_mul_f64 v[14:15], v[102:103], s[26:27]
	v_fma_f64 v[26:27], v[247:248], s[20:21], v[18:19]
	v_mul_f64 v[42:43], v[220:221], s[38:39]
	v_fma_f64 v[50:51], v[224:225], s[34:35], -v[34:35]
	v_add_f64 v[32:33], v[48:49], v[32:33]
	v_add_f64 v[24:25], v[44:45], v[24:25]
	v_fma_f64 v[18:19], v[247:248], s[20:21], -v[18:19]
	v_fma_f64 v[38:39], v[214:215], s[22:23], v[38:39]
	v_add_f64 v[22:23], v[30:31], v[22:23]
	v_add_f64 v[20:21], v[46:47], v[20:21]
	v_mul_f64 v[40:41], v[216:217], s[26:27]
	v_fma_f64 v[44:45], v[222:223], s[20:21], -v[42:43]
	v_add_f64 v[32:33], v[50:51], v[32:33]
	v_fma_f64 v[30:31], v[241:242], s[16:17], v[14:15]
	v_add_f64 v[24:25], v[26:27], v[24:25]
	v_fma_f64 v[14:15], v[241:242], s[16:17], -v[14:15]
	v_fma_f64 v[36:37], v[234:235], s[36:37], v[36:37]
	v_add_f64 v[22:23], v[38:39], v[22:23]
	v_add_f64 v[18:19], v[18:19], v[20:21]
	;; [unrolled: 1-line block ×3, first 2 shown]
	v_mul_f64 v[12:13], v[8:9], s[42:43]
	v_mul_f64 v[20:21], v[212:213], s[42:43]
	v_fma_f64 v[26:27], v[226:227], s[16:17], -v[40:41]
	v_add_f64 v[32:33], v[44:45], v[32:33]
	v_add_f64 v[46:47], v[30:31], v[24:25]
	v_fma_f64 v[16:17], v[228:229], s[8:9], v[28:29]
	v_add_f64 v[22:23], v[36:37], v[22:23]
	v_add_f64 v[54:55], v[14:15], v[18:19]
	v_mul_f64 v[18:19], v[6:7], s[18:19]
	v_fma_f64 v[24:25], v[4:5], s[34:35], v[12:13]
	v_mul_f64 v[28:29], v[208:209], s[18:19]
	v_fma_f64 v[30:31], v[206:207], s[34:35], -v[20:21]
	v_add_f64 v[44:45], v[26:27], v[32:33]
	v_fma_f64 v[26:27], v[224:225], s[34:35], v[34:35]
	v_add_f64 v[16:17], v[16:17], v[22:23]
	v_mul_f64 v[32:33], v[204:205], s[54:55]
	v_fma_f64 v[34:35], v[0:1], s[8:9], v[18:19]
	v_add_f64 v[24:25], v[146:147], v[24:25]
	v_mul_f64 v[36:37], v[218:219], s[54:55]
	v_fma_f64 v[38:39], v[210:211], s[8:9], -v[28:29]
	v_add_f64 v[30:31], v[144:145], v[30:31]
	v_fma_f64 v[14:15], v[226:227], s[16:17], v[40:41]
	v_fma_f64 v[22:23], v[222:223], s[20:21], v[42:43]
	v_add_f64 v[16:17], v[26:27], v[16:17]
	v_fma_f64 v[12:13], v[4:5], s[34:35], -v[12:13]
	v_mul_f64 v[26:27], v[10:11], s[40:41]
	v_fma_f64 v[40:41], v[2:3], s[30:31], v[32:33]
	v_add_f64 v[24:25], v[34:35], v[24:25]
	v_mul_f64 v[34:35], v[230:231], s[40:41]
	v_fma_f64 v[42:43], v[214:215], s[30:31], -v[36:37]
	v_add_f64 v[30:31], v[38:39], v[30:31]
	buffer_store_dword v50, off, s[64:67], 0 offset:472 ; 4-byte Folded Spill
	s_nop 0
	buffer_store_dword v51, off, s[64:67], 0 offset:476 ; 4-byte Folded Spill
	buffer_store_dword v52, off, s[64:67], 0 offset:480 ; 4-byte Folded Spill
	;; [unrolled: 1-line block ×4, first 2 shown]
	s_nop 0
	buffer_store_dword v45, off, s[64:67], 0 offset:460 ; 4-byte Folded Spill
	buffer_store_dword v46, off, s[64:67], 0 offset:464 ; 4-byte Folded Spill
	buffer_store_dword v47, off, s[64:67], 0 offset:468 ; 4-byte Folded Spill
	v_fma_f64 v[18:19], v[0:1], s[8:9], -v[18:19]
	v_add_f64 v[12:13], v[146:147], v[12:13]
	v_mul_f64 v[38:39], v[238:239], s[50:51]
	v_fma_f64 v[44:45], v[253:254], s[20:21], v[26:27]
	v_add_f64 v[24:25], v[40:41], v[24:25]
	v_mul_f64 v[40:41], v[236:237], s[50:51]
	v_fma_f64 v[46:47], v[234:235], s[20:21], -v[34:35]
	v_add_f64 v[30:31], v[42:43], v[30:31]
	v_fma_f64 v[32:33], v[2:3], s[30:31], -v[32:33]
	v_add_f64 v[12:13], v[18:19], v[12:13]
	v_mul_f64 v[18:19], v[66:67], s[24:25]
	v_fma_f64 v[42:43], v[251:252], s[36:37], v[38:39]
	v_add_f64 v[24:25], v[44:45], v[24:25]
	v_mul_f64 v[44:45], v[232:233], s[24:25]
	v_fma_f64 v[48:49], v[228:229], s[36:37], -v[40:41]
	v_add_f64 v[30:31], v[46:47], v[30:31]
	v_mov_b32_e32 v74, v80
	v_mov_b32_e32 v75, v81
	v_fma_f64 v[26:27], v[253:254], s[20:21], -v[26:27]
	v_add_f64 v[12:13], v[32:33], v[12:13]
	v_mul_f64 v[32:33], v[74:75], s[56:57]
	v_fma_f64 v[46:47], v[249:250], s[10:11], v[18:19]
	v_add_f64 v[24:25], v[42:43], v[24:25]
	v_mul_f64 v[42:43], v[220:221], s[56:57]
	v_fma_f64 v[50:51], v[224:225], s[10:11], -v[44:45]
	v_add_f64 v[30:31], v[48:49], v[30:31]
	v_fma_f64 v[38:39], v[251:252], s[36:37], -v[38:39]
	v_add_f64 v[12:13], v[26:27], v[12:13]
	v_mul_f64 v[26:27], v[102:103], s[48:49]
	v_fma_f64 v[48:49], v[247:248], s[16:17], v[32:33]
	v_add_f64 v[24:25], v[46:47], v[24:25]
	v_mul_f64 v[46:47], v[216:217], s[48:49]
	v_fma_f64 v[52:53], v[222:223], s[16:17], -v[42:43]
	v_add_f64 v[30:31], v[50:51], v[30:31]
	v_fma_f64 v[18:19], v[249:250], s[10:11], -v[18:19]
	v_add_f64 v[12:13], v[38:39], v[12:13]
	v_add_f64 v[16:17], v[22:23], v[16:17]
	v_fma_f64 v[22:23], v[241:242], s[22:23], v[26:27]
	v_add_f64 v[24:25], v[48:49], v[24:25]
	v_fma_f64 v[20:21], v[206:207], s[34:35], v[20:21]
	v_fma_f64 v[38:39], v[226:227], s[22:23], -v[46:47]
	v_add_f64 v[30:31], v[52:53], v[30:31]
	v_fma_f64 v[32:33], v[247:248], s[16:17], -v[32:33]
	v_add_f64 v[12:13], v[18:19], v[12:13]
	v_add_f64 v[52:53], v[14:15], v[16:17]
	v_fma_f64 v[14:15], v[210:211], s[8:9], v[28:29]
	v_add_f64 v[22:23], v[22:23], v[24:25]
	v_add_f64 v[18:19], v[144:145], v[20:21]
	v_mul_f64 v[16:17], v[8:9], s[50:51]
	v_add_f64 v[20:21], v[38:39], v[30:31]
	buffer_store_dword v52, off, s[64:67], 0 offset:504 ; 4-byte Folded Spill
	s_nop 0
	buffer_store_dword v53, off, s[64:67], 0 offset:508 ; 4-byte Folded Spill
	buffer_store_dword v54, off, s[64:67], 0 offset:512 ; 4-byte Folded Spill
	;; [unrolled: 1-line block ×4, first 2 shown]
	s_nop 0
	buffer_store_dword v21, off, s[64:67], 0 offset:492 ; 4-byte Folded Spill
	buffer_store_dword v22, off, s[64:67], 0 offset:496 ; 4-byte Folded Spill
	;; [unrolled: 1-line block ×3, first 2 shown]
	v_fma_f64 v[20:21], v[241:242], s[22:23], -v[26:27]
	v_fma_f64 v[22:23], v[214:215], s[30:31], v[36:37]
	v_mul_f64 v[24:25], v[6:7], s[26:27]
	v_fma_f64 v[26:27], v[4:5], s[36:37], v[16:17]
	v_add_f64 v[14:15], v[14:15], v[18:19]
	v_mul_f64 v[28:29], v[212:213], s[50:51]
	s_mov_b32 s53, 0x3fc7851a
	s_mov_b32 s52, s18
	v_add_f64 v[12:13], v[32:33], v[12:13]
	v_fma_f64 v[18:19], v[234:235], s[20:21], v[34:35]
	v_mul_f64 v[30:31], v[204:205], s[52:53]
	v_fma_f64 v[32:33], v[0:1], s[16:17], v[24:25]
	v_add_f64 v[26:27], v[146:147], v[26:27]
	v_add_f64 v[14:15], v[22:23], v[14:15]
	v_mul_f64 v[36:37], v[208:209], s[26:27]
	v_fma_f64 v[38:39], v[206:207], s[36:37], -v[28:29]
	v_fma_f64 v[22:23], v[226:227], s[22:23], v[46:47]
	v_fma_f64 v[34:35], v[228:229], s[36:37], v[40:41]
	v_mul_f64 v[40:41], v[10:11], s[54:55]
	v_fma_f64 v[46:47], v[2:3], s[8:9], v[30:31]
	v_add_f64 v[26:27], v[32:33], v[26:27]
	v_add_f64 v[14:15], v[18:19], v[14:15]
	v_fma_f64 v[18:19], v[224:225], s[10:11], v[44:45]
	v_mul_f64 v[32:33], v[218:219], s[52:53]
	v_fma_f64 v[44:45], v[210:211], s[16:17], -v[36:37]
	v_add_f64 v[38:39], v[144:145], v[38:39]
	v_mov_b32_e32 v76, v140
	v_mov_b32_e32 v77, v141
	v_mov_b32_e32 v78, v142
	v_mov_b32_e32 v79, v143
	v_mov_b32_e32 v141, v139
	v_mov_b32_e32 v140, v138
	v_mov_b32_e32 v139, v137
	v_mov_b32_e32 v138, v136
	v_mov_b32_e32 v137, v135
	v_mov_b32_e32 v136, v134
	v_mov_b32_e32 v135, v133
	v_mov_b32_e32 v134, v132
	v_mov_b32_e32 v133, v131
	v_mov_b32_e32 v132, v130
	v_mov_b32_e32 v131, v129
	v_mov_b32_e32 v130, v128
	v_mov_b32_e32 v129, v127
	v_mul_f64 v[48:49], v[238:239], s[48:49]
	v_fma_f64 v[50:51], v[253:254], s[30:31], v[40:41]
	v_add_f64 v[26:27], v[46:47], v[26:27]
	v_add_f64 v[14:15], v[34:35], v[14:15]
	v_fma_f64 v[34:35], v[222:223], s[16:17], v[42:43]
	v_mul_f64 v[42:43], v[230:231], s[54:55]
	v_fma_f64 v[46:47], v[214:215], s[8:9], -v[32:33]
	v_add_f64 v[38:39], v[44:45], v[38:39]
	v_fma_f64 v[16:17], v[4:5], s[36:37], -v[16:17]
	v_mov_b32_e32 v128, v126
	v_mov_b32_e32 v127, v125
	;; [unrolled: 1-line block ×25, first 2 shown]
	v_mul_f64 v[44:45], v[104:105], s[38:39]
	v_fma_f64 v[52:53], v[251:252], s[22:23], v[48:49]
	v_add_f64 v[26:27], v[50:51], v[26:27]
	v_add_f64 v[14:15], v[18:19], v[14:15]
	v_mul_f64 v[50:51], v[236:237], s[48:49]
	v_fma_f64 v[18:19], v[234:235], s[30:31], -v[42:43]
	v_add_f64 v[38:39], v[46:47], v[38:39]
	v_fma_f64 v[24:25], v[0:1], s[16:17], -v[24:25]
	v_add_f64 v[16:17], v[146:147], v[16:17]
	v_fma_f64 v[54:55], v[249:250], s[20:21], v[44:45]
	v_add_f64 v[26:27], v[52:53], v[26:27]
	v_mul_f64 v[52:53], v[232:233], s[38:39]
	v_fma_f64 v[56:57], v[228:229], s[22:23], -v[50:51]
	v_fma_f64 v[30:31], v[2:3], s[8:9], -v[30:31]
	v_add_f64 v[18:19], v[18:19], v[38:39]
	v_mul_f64 v[46:47], v[74:75], s[42:43]
	v_add_f64 v[16:17], v[24:25], v[16:17]
	v_add_f64 v[34:35], v[34:35], v[14:15]
	;; [unrolled: 1-line block ×3, first 2 shown]
	v_mul_f64 v[54:55], v[220:221], s[42:43]
	v_fma_f64 v[24:25], v[224:225], s[20:21], -v[52:53]
	v_fma_f64 v[40:41], v[253:254], s[30:31], -v[40:41]
	v_add_f64 v[18:19], v[56:57], v[18:19]
	v_mov_b32_e32 v143, v103
	v_add_f64 v[16:17], v[30:31], v[16:17]
	v_mov_b32_e32 v142, v102
	v_mul_f64 v[38:39], v[142:143], s[24:25]
	v_fma_f64 v[58:59], v[247:248], s[34:35], v[46:47]
	v_fma_f64 v[30:31], v[222:223], s[34:35], -v[54:55]
	v_add_f64 v[14:15], v[20:21], v[12:13]
	v_add_f64 v[24:25], v[24:25], v[18:19]
	;; [unrolled: 1-line block ×3, first 2 shown]
	v_fma_f64 v[20:21], v[251:252], s[22:23], -v[48:49]
	v_mul_f64 v[22:23], v[8:9], s[46:47]
	v_add_f64 v[16:17], v[40:41], v[16:17]
	v_fma_f64 v[28:29], v[206:207], s[36:37], v[28:29]
	v_fma_f64 v[56:57], v[241:242], s[10:11], v[38:39]
	v_add_f64 v[26:27], v[58:59], v[26:27]
	v_add_f64 v[24:25], v[30:31], v[24:25]
	v_fma_f64 v[30:31], v[241:242], s[10:11], -v[38:39]
	v_fma_f64 v[34:35], v[249:250], s[20:21], -v[44:45]
	v_mul_f64 v[38:39], v[6:7], s[42:43]
	v_fma_f64 v[40:41], v[4:5], s[22:23], v[22:23]
	v_add_f64 v[16:17], v[20:21], v[16:17]
	v_fma_f64 v[36:37], v[210:211], s[16:17], v[36:37]
	v_mul_f64 v[44:45], v[212:213], s[46:47]
	v_add_f64 v[28:29], v[144:145], v[28:29]
	v_add_f64 v[150:151], v[56:57], v[26:27]
	v_fma_f64 v[20:21], v[247:248], s[34:35], -v[46:47]
	v_mul_f64 v[46:47], v[204:205], s[26:27]
	v_fma_f64 v[48:49], v[0:1], s[34:35], v[38:39]
	v_add_f64 v[40:41], v[146:147], v[40:41]
	v_add_f64 v[16:17], v[34:35], v[16:17]
	v_fma_f64 v[32:33], v[214:215], s[8:9], v[32:33]
	v_mul_f64 v[34:35], v[208:209], s[42:43]
	v_fma_f64 v[56:57], v[206:207], s[22:23], -v[44:45]
	v_add_f64 v[28:29], v[36:37], v[28:29]
	v_mul_f64 v[36:37], v[10:11], s[18:19]
	v_fma_f64 v[60:61], v[2:3], s[16:17], v[46:47]
	v_add_f64 v[40:41], v[48:49], v[40:41]
	v_fma_f64 v[42:43], v[234:235], s[30:31], v[42:43]
	v_mul_f64 v[48:49], v[218:219], s[26:27]
	v_fma_f64 v[62:63], v[210:211], s[34:35], -v[34:35]
	v_add_f64 v[56:57], v[144:145], v[56:57]
	v_add_f64 v[28:29], v[32:33], v[28:29]
	v_mul_f64 v[32:33], v[238:239], s[58:59]
	v_fma_f64 v[64:65], v[253:254], s[8:9], v[36:37]
	v_add_f64 v[40:41], v[60:61], v[40:41]
	v_fma_f64 v[50:51], v[228:229], s[22:23], v[50:51]
	v_mul_f64 v[60:61], v[230:231], s[18:19]
	v_fma_f64 v[66:67], v[214:215], s[16:17], -v[48:49]
	v_add_f64 v[56:57], v[62:63], v[56:57]
	v_add_f64 v[28:29], v[42:43], v[28:29]
	buffer_store_dword v94, off, s[64:67], 0 offset:432 ; 4-byte Folded Spill
	buffer_store_dword v95, off, s[64:67], 0 offset:436 ; 4-byte Folded Spill
	v_mov_b32_e32 v102, v96
	v_mov_b32_e32 v103, v97
	;; [unrolled: 1-line block ×15, first 2 shown]
	v_mul_f64 v[42:43], v[104:105], s[54:55]
	v_fma_f64 v[62:63], v[251:252], s[10:11], v[32:33]
	v_add_f64 v[40:41], v[64:65], v[40:41]
	v_fma_f64 v[52:53], v[224:225], s[20:21], v[52:53]
	v_mul_f64 v[64:65], v[236:237], s[58:59]
	v_mov_b32_e32 v83, v70
	v_mov_b32_e32 v82, v69
	;; [unrolled: 1-line block ×3, first 2 shown]
	v_fma_f64 v[68:69], v[234:235], s[8:9], -v[60:61]
	v_add_f64 v[56:57], v[66:67], v[56:57]
	v_add_f64 v[28:29], v[50:51], v[28:29]
	v_mul_f64 v[58:59], v[216:217], s[24:25]
	v_mul_f64 v[50:51], v[74:75], s[44:45]
	v_fma_f64 v[66:67], v[249:250], s[30:31], v[42:43]
	v_add_f64 v[40:41], v[62:63], v[40:41]
	v_fma_f64 v[54:55], v[222:223], s[34:35], v[54:55]
	v_fma_f64 v[70:71], v[228:229], s[10:11], -v[64:65]
	v_add_f64 v[56:57], v[68:69], v[56:57]
	v_add_f64 v[28:29], v[52:53], v[28:29]
	v_fma_f64 v[26:27], v[226:227], s[10:11], -v[58:59]
	v_mul_f64 v[52:53], v[142:143], s[40:41]
	v_fma_f64 v[68:69], v[247:248], s[36:37], v[50:51]
	v_add_f64 v[40:41], v[66:67], v[40:41]
	v_add_f64 v[20:21], v[20:21], v[16:17]
	v_fma_f64 v[58:59], v[226:227], s[10:11], v[58:59]
	v_add_f64 v[56:57], v[70:71], v[56:57]
	v_add_f64 v[28:29], v[54:55], v[28:29]
	v_fma_f64 v[70:71], v[4:5], s[22:23], -v[22:23]
	v_mul_f64 v[62:63], v[232:233], s[54:55]
	v_fma_f64 v[54:55], v[241:242], s[20:21], v[52:53]
	v_add_f64 v[40:41], v[68:69], v[40:41]
	v_add_f64 v[148:149], v[26:27], v[24:25]
	;; [unrolled: 1-line block ×3, first 2 shown]
	v_fma_f64 v[24:25], v[0:1], s[34:35], -v[38:39]
	v_add_f64 v[20:21], v[58:59], v[28:29]
	v_add_f64 v[28:29], v[146:147], v[70:71]
	v_mul_f64 v[66:67], v[220:221], s[44:45]
	v_fma_f64 v[16:17], v[224:225], s[30:31], -v[62:63]
	v_add_f64 v[26:27], v[54:55], v[40:41]
	v_fma_f64 v[40:41], v[241:242], s[20:21], -v[52:53]
	v_fma_f64 v[44:45], v[206:207], s[22:23], v[44:45]
	v_fma_f64 v[46:47], v[2:3], s[16:17], -v[46:47]
	v_mul_f64 v[52:53], v[8:9], s[38:39]
	v_add_f64 v[24:25], v[24:25], v[28:29]
	v_mov_b32_e32 v80, v72
	v_mov_b32_e32 v85, v73
	v_fma_f64 v[72:73], v[222:223], s[36:37], -v[66:67]
	v_add_f64 v[56:57], v[16:17], v[56:57]
	v_fma_f64 v[28:29], v[249:250], s[30:31], -v[42:43]
	v_fma_f64 v[34:35], v[210:211], s[34:35], v[34:35]
	v_add_f64 v[42:43], v[144:145], v[44:45]
	v_fma_f64 v[36:37], v[253:254], s[8:9], -v[36:37]
	v_mul_f64 v[44:45], v[6:7], s[46:47]
	v_fma_f64 v[54:55], v[4:5], s[20:21], v[52:53]
	v_add_f64 v[24:25], v[46:47], v[24:25]
	v_add_f64 v[38:39], v[72:73], v[56:57]
	v_fma_f64 v[46:47], v[214:215], s[16:17], v[48:49]
	v_add_f64 v[48:49], v[146:147], v[100:101]
	v_add_f64 v[56:57], v[144:145], v[98:99]
	v_fma_f64 v[32:33], v[251:252], s[10:11], -v[32:33]
	v_add_f64 v[34:35], v[34:35], v[42:43]
	v_mul_f64 v[42:43], v[204:205], s[50:51]
	v_fma_f64 v[58:59], v[0:1], s[22:23], v[44:45]
	v_add_f64 v[54:55], v[146:147], v[54:55]
	v_add_f64 v[24:25], v[36:37], v[24:25]
	;; [unrolled: 1-line block ×4, first 2 shown]
	v_fma_f64 v[36:37], v[234:235], s[8:9], v[60:61]
	v_add_f64 v[34:35], v[46:47], v[34:35]
	v_mul_f64 v[10:11], v[10:11], s[42:43]
	v_fma_f64 v[46:47], v[2:3], s[36:37], v[42:43]
	v_add_f64 v[54:55], v[58:59], v[54:55]
	v_add_f64 v[24:25], v[32:33], v[24:25]
	;; [unrolled: 1-line block ×4, first 2 shown]
	v_fma_f64 v[50:51], v[247:248], s[36:37], -v[50:51]
	v_add_f64 v[34:35], v[36:37], v[34:35]
	v_mul_f64 v[8:9], v[238:239], s[28:29]
	v_fma_f64 v[36:37], v[253:254], s[34:35], v[10:11]
	v_add_f64 v[46:47], v[46:47], v[54:55]
	v_add_f64 v[24:25], v[28:29], v[24:25]
	v_mul_f64 v[58:59], v[212:213], s[38:39]
	v_add_f64 v[48:49], v[48:49], v[162:163]
	v_add_f64 v[54:55], v[56:57], v[160:161]
	v_mul_f64 v[68:69], v[216:217], s[40:41]
	v_fma_f64 v[6:7], v[251:252], s[30:31], v[8:9]
	v_fma_f64 v[4:5], v[4:5], s[20:21], -v[52:53]
	v_add_f64 v[36:37], v[36:37], v[46:47]
	v_add_f64 v[24:25], v[50:51], v[24:25]
	v_fma_f64 v[46:47], v[222:223], s[36:37], v[66:67]
	v_mul_f64 v[52:53], v[208:209], s[46:47]
	v_fma_f64 v[66:67], v[206:207], s[20:21], v[58:59]
	v_add_f64 v[48:49], v[48:49], v[166:167]
	v_add_f64 v[50:51], v[54:55], v[164:165]
	v_fma_f64 v[30:31], v[226:227], s[20:21], -v[68:69]
	v_add_f64 v[36:37], v[6:7], v[36:37]
	v_add_f64 v[6:7], v[40:41], v[24:25]
	v_fma_f64 v[24:25], v[226:227], s[20:21], v[68:69]
	v_mul_f64 v[68:69], v[218:219], s[50:51]
	v_fma_f64 v[0:1], v[0:1], s[22:23], -v[44:45]
	v_add_f64 v[4:5], v[146:147], v[4:5]
	v_fma_f64 v[44:45], v[210:211], s[22:23], v[52:53]
	v_add_f64 v[66:67], v[144:145], v[66:67]
	v_add_f64 v[40:41], v[48:49], v[170:171]
	;; [unrolled: 1-line block ×3, first 2 shown]
	v_fma_f64 v[32:33], v[228:229], s[10:11], v[64:65]
	v_mul_f64 v[64:65], v[230:231], s[42:43]
	v_fma_f64 v[2:3], v[2:3], s[36:37], -v[42:43]
	v_add_f64 v[0:1], v[0:1], v[4:5]
	v_fma_f64 v[4:5], v[214:215], s[36:37], v[68:69]
	v_add_f64 v[44:45], v[44:45], v[66:67]
	v_fma_f64 v[28:29], v[224:225], s[30:31], v[62:63]
	v_add_f64 v[48:49], v[48:49], v[176:177]
	v_mul_f64 v[62:63], v[236:237], s[28:29]
	v_fma_f64 v[10:11], v[253:254], s[34:35], -v[10:11]
	v_add_f64 v[32:33], v[32:33], v[34:35]
	v_add_f64 v[0:1], v[2:3], v[0:1]
	v_fma_f64 v[2:3], v[234:235], s[34:35], v[64:65]
	v_add_f64 v[4:5], v[4:5], v[44:45]
	v_mul_f64 v[34:35], v[104:105], s[26:27]
	v_add_f64 v[48:49], v[48:49], v[180:181]
	v_mul_f64 v[60:61], v[232:233], s[26:27]
	v_fma_f64 v[58:59], v[206:207], s[20:21], -v[58:59]
	v_fma_f64 v[8:9], v[251:252], s[30:31], -v[8:9]
	v_add_f64 v[0:1], v[10:11], v[0:1]
	v_fma_f64 v[10:11], v[228:229], s[30:31], v[62:63]
	v_add_f64 v[2:3], v[2:3], v[4:5]
	v_mov_b32_e32 v104, v106
	v_add_f64 v[48:49], v[48:49], v[172:173]
	v_mov_b32_e32 v105, v107
	v_mov_b32_e32 v106, v108
	;; [unrolled: 1-line block ×8, first 2 shown]
	v_fma_f64 v[54:55], v[249:250], s[16:17], v[34:35]
	buffer_load_dword v239, off, s[64:67], 0 offset:156 ; 4-byte Folded Reload
	buffer_load_dword v50, off, s[64:67], 0 offset:148 ; 4-byte Folded Reload
	;; [unrolled: 1-line block ×3, first 2 shown]
	v_mul_f64 v[56:57], v[220:221], s[24:25]
	v_fma_f64 v[52:53], v[210:211], s[22:23], -v[52:53]
	v_add_f64 v[58:59], v[144:145], v[58:59]
	v_fma_f64 v[34:35], v[249:250], s[16:17], -v[34:35]
	v_add_f64 v[0:1], v[8:9], v[0:1]
	v_fma_f64 v[8:9], v[224:225], s[16:17], v[60:61]
	v_add_f64 v[2:3], v[10:11], v[2:3]
	v_mov_b32_e32 v113, v115
	v_mov_b32_e32 v114, v116
	;; [unrolled: 1-line block ×16, first 2 shown]
	v_add_f64 v[42:43], v[48:49], v[184:185]
	v_fma_f64 v[48:49], v[214:215], s[36:37], -v[68:69]
	v_mov_b32_e32 v68, v81
	v_mov_b32_e32 v73, v85
	;; [unrolled: 1-line block ×32, first 2 shown]
	v_add_f64 v[36:37], v[54:55], v[36:37]
	v_mul_f64 v[54:55], v[216:217], s[18:19]
	buffer_load_dword v237, off, s[64:67], 0 ; 4-byte Folded Reload
	buffer_load_dword v230, off, s[64:67], 0 offset:272 ; 4-byte Folded Reload
	buffer_load_dword v231, off, s[64:67], 0 offset:276 ; 4-byte Folded Reload
	buffer_load_dword v232, off, s[64:67], 0 offset:280 ; 4-byte Folded Reload
	buffer_load_dword v233, off, s[64:67], 0 offset:284 ; 4-byte Folded Reload
	buffer_load_dword v218, off, s[64:67], 0 offset:224 ; 4-byte Folded Reload
	buffer_load_dword v219, off, s[64:67], 0 offset:228 ; 4-byte Folded Reload
	buffer_load_dword v220, off, s[64:67], 0 offset:232 ; 4-byte Folded Reload
	buffer_load_dword v221, off, s[64:67], 0 offset:236 ; 4-byte Folded Reload
	buffer_load_dword v210, off, s[64:67], 0 offset:192 ; 4-byte Folded Reload
	buffer_load_dword v211, off, s[64:67], 0 offset:196 ; 4-byte Folded Reload
	buffer_load_dword v212, off, s[64:67], 0 offset:200 ; 4-byte Folded Reload
	buffer_load_dword v213, off, s[64:67], 0 offset:204 ; 4-byte Folded Reload
	v_mov_b32_e32 v91, v95
	v_mov_b32_e32 v92, v96
	;; [unrolled: 1-line block ×3, first 2 shown]
	buffer_load_dword v95, off, s[64:67], 0 offset:436 ; 4-byte Folded Reload
	buffer_load_dword v94, off, s[64:67], 0 offset:432 ; 4-byte Folded Reload
	;; [unrolled: 1-line block ×10, first 2 shown]
	v_add_f64 v[52:53], v[52:53], v[58:59]
	v_fma_f64 v[44:45], v[234:235], s[34:35], -v[64:65]
	buffer_load_dword v235, off, s[64:67], 0 offset:308 ; 4-byte Folded Reload
	buffer_load_dword v234, off, s[64:67], 0 offset:304 ; 4-byte Folded Reload
	;; [unrolled: 1-line block ×6, first 2 shown]
	v_fma_f64 v[10:11], v[224:225], s[16:17], -v[60:61]
	v_add_f64 v[0:1], v[34:35], v[0:1]
	v_fma_f64 v[34:35], v[222:223], s[10:11], v[56:57]
	v_add_f64 v[2:3], v[8:9], v[2:3]
	v_fma_f64 v[8:9], v[222:223], s[10:11], -v[56:57]
	buffer_load_dword v222, off, s[64:67], 0 offset:240 ; 4-byte Folded Reload
	buffer_load_dword v223, off, s[64:67], 0 offset:244 ; 4-byte Folded Reload
	;; [unrolled: 1-line block ×8, first 2 shown]
	v_add_f64 v[40:41], v[40:41], v[178:179]
	v_add_f64 v[42:43], v[42:43], v[188:189]
	;; [unrolled: 1-line block ×3, first 2 shown]
	v_fma_f64 v[4:5], v[228:229], s[30:31], -v[62:63]
	v_add_f64 v[28:29], v[28:29], v[32:33]
	v_mul_f64 v[32:33], v[74:75], s[24:25]
	s_waitcnt vmcnt(38)
	v_mov_b32_e32 v238, v50
	buffer_load_dword v74, off, s[64:67], 0 offset:316 ; 4-byte Folded Reload
	buffer_load_dword v75, off, s[64:67], 0 offset:320 ; 4-byte Folded Reload
	buffer_load_dword v76, off, s[64:67], 0 offset:324 ; 4-byte Folded Reload
	buffer_load_dword v77, off, s[64:67], 0 offset:328 ; 4-byte Folded Reload
	v_add_f64 v[40:41], v[40:41], v[182:183]
	v_add_f64 v[42:43], v[42:43], v[192:193]
	;; [unrolled: 1-line block ×5, first 2 shown]
	v_mul_f64 v[46:47], v[18:19], s[18:19]
	s_waitcnt vmcnt(41)
	v_fma_f64 v[50:51], v[247:248], s[10:11], v[32:33]
	v_fma_f64 v[32:33], v[247:248], s[10:11], -v[32:33]
	v_add_f64 v[40:41], v[40:41], v[174:175]
	v_add_f64 v[42:43], v[42:43], v[196:197]
	;; [unrolled: 1-line block ×3, first 2 shown]
	v_mov_b32_e32 v97, v103
	v_mov_b32_e32 v96, v102
	v_fma_f64 v[44:45], v[241:242], s[8:9], v[46:47]
	v_add_f64 v[36:37], v[50:51], v[36:37]
	v_add_f64 v[0:1], v[32:33], v[0:1]
	;; [unrolled: 1-line block ×5, first 2 shown]
	v_fma_f64 v[10:11], v[241:242], s[8:9], -v[46:47]
	v_fma_f64 v[46:47], v[226:227], s[8:9], -v[54:55]
	v_fma_f64 v[32:33], v[226:227], s[8:9], v[54:55]
	buffer_load_dword v242, off, s[64:67], 0 offset:312 ; 4-byte Folded Reload
	buffer_load_dword v226, off, s[64:67], 0 offset:256 ; 4-byte Folded Reload
	;; [unrolled: 1-line block ×5, first 2 shown]
	v_add_f64 v[40:41], v[40:41], v[190:191]
	v_add_f64 v[146:147], v[44:45], v[36:37]
	;; [unrolled: 1-line block ×6, first 2 shown]
	v_mul_lo_u16_e32 v28, 17, v239
	v_add_f64 v[24:25], v[30:31], v[38:39]
	v_add_f64 v[40:41], v[40:41], v[194:195]
	v_add_u32_e32 v103, 0x550, v240
	v_add_f64 v[144:145], v[46:47], v[48:49]
	v_add_u32_e32 v102, 0xaa0, v240
	v_add_f64 v[40:41], v[40:41], v[198:199]
	v_add_f64 v[40:41], v[40:41], v[202:203]
	s_waitcnt vmcnt(9)
	v_add_f64 v[40:41], v[40:41], v[58:59]
	v_add_f64 v[42:43], v[42:43], v[56:57]
	;; [unrolled: 1-line block ×4, first 2 shown]
	buffer_load_dword v40, off, s[64:67], 0 offset:160 ; 4-byte Folded Reload
	buffer_load_dword v41, off, s[64:67], 0 offset:164 ; 4-byte Folded Reload
	;; [unrolled: 1-line block ×9, first 2 shown]
	s_waitcnt vmcnt(0)
	v_lshl_add_u32 v28, v28, 4, v29
	ds_write_b128 v28, v[8:11]
	ds_write_b128 v28, v[0:3] offset:16
	ds_write_b128 v28, v[4:7] offset:32
	ds_write_b128 v28, v[20:23] offset:48
	ds_write_b128 v28, v[12:15] offset:64
	buffer_load_dword v0, off, s[64:67], 0 offset:504 ; 4-byte Folded Reload
	buffer_load_dword v1, off, s[64:67], 0 offset:508 ; 4-byte Folded Reload
	buffer_load_dword v2, off, s[64:67], 0 offset:512 ; 4-byte Folded Reload
	buffer_load_dword v3, off, s[64:67], 0 offset:516 ; 4-byte Folded Reload
	s_waitcnt vmcnt(0)
	ds_write_b128 v28, v[0:3] offset:80
	buffer_load_dword v0, off, s[64:67], 0 offset:472 ; 4-byte Folded Reload
	buffer_load_dword v1, off, s[64:67], 0 offset:476 ; 4-byte Folded Reload
	buffer_load_dword v2, off, s[64:67], 0 offset:480 ; 4-byte Folded Reload
	buffer_load_dword v3, off, s[64:67], 0 offset:484 ; 4-byte Folded Reload
	s_waitcnt vmcnt(0)
	ds_write_b128 v28, v[0:3] offset:96
	;; [unrolled: 6-line block ×9, first 2 shown]
	ds_write_b128 v28, v[148:151] offset:224
	ds_write_b128 v28, v[24:27] offset:240
	;; [unrolled: 1-line block ×3, first 2 shown]
.LBB0_13:
	s_or_b64 exec, exec, s[2:3]
	s_waitcnt lgkmcnt(0)
	s_barrier
	ds_read_b128 v[0:3], v255 offset:6800
	ds_read_b128 v[4:7], v255
	ds_read_b128 v[8:11], v255 offset:1360
	ds_read_b128 v[12:15], v255 offset:13600
	;; [unrolled: 1-line block ×13, first 2 shown]
	buffer_load_dword v54, off, s[64:67], 0 offset:4 ; 4-byte Folded Reload
	buffer_load_dword v55, off, s[64:67], 0 offset:8 ; 4-byte Folded Reload
	;; [unrolled: 1-line block ×4, first 2 shown]
	s_waitcnt lgkmcnt(14)
	v_mul_f64 v[30:31], v[46:47], v[0:1]
	s_waitcnt lgkmcnt(11)
	v_mul_f64 v[32:33], v[42:43], v[14:15]
	v_mul_f64 v[28:29], v[46:47], v[2:3]
	v_mul_f64 v[34:35], v[42:43], v[12:13]
	s_waitcnt lgkmcnt(9)
	v_mul_f64 v[36:37], v[216:217], v[22:23]
	v_mul_f64 v[38:39], v[216:217], v[20:21]
	s_mov_b32 s2, 0xe8584caa
	s_mov_b32 s3, 0xbfebb67a
	v_fma_f64 v[2:3], v[44:45], v[2:3], -v[30:31]
	v_fma_f64 v[12:13], v[40:41], v[12:13], v[32:33]
	v_mul_f64 v[30:31], v[212:213], v[16:17]
	s_waitcnt lgkmcnt(8)
	v_mul_f64 v[32:33], v[224:225], v[26:27]
	v_fma_f64 v[28:29], v[44:45], v[0:1], v[28:29]
	v_mul_f64 v[0:1], v[212:213], v[18:19]
	v_fma_f64 v[14:15], v[40:41], v[14:15], -v[34:35]
	v_mul_f64 v[34:35], v[224:225], v[24:25]
	v_fma_f64 v[20:21], v[214:215], v[20:21], v[36:37]
	s_waitcnt lgkmcnt(0)
	v_mul_f64 v[44:45], v[253:254], v[174:175]
	v_fma_f64 v[18:19], v[210:211], v[18:19], -v[30:31]
	v_mul_f64 v[30:31], v[232:233], v[164:165]
	v_fma_f64 v[24:25], v[222:223], v[24:25], v[32:33]
	v_mul_f64 v[32:33], v[228:229], v[158:159]
	v_fma_f64 v[16:17], v[210:211], v[16:17], v[0:1]
	v_mul_f64 v[0:1], v[220:221], v[154:155]
	v_fma_f64 v[26:27], v[222:223], v[26:27], -v[34:35]
	v_add_f64 v[40:41], v[28:29], v[12:13]
	v_fma_f64 v[22:23], v[214:215], v[22:23], -v[38:39]
	v_fma_f64 v[42:43], v[230:231], v[166:167], -v[30:31]
	v_mul_f64 v[36:37], v[220:221], v[152:153]
	v_fma_f64 v[46:47], v[226:227], v[156:157], v[32:33]
	v_mul_f64 v[38:39], v[232:233], v[166:167]
	v_fma_f64 v[34:35], v[218:219], v[152:153], v[0:1]
	v_mul_f64 v[0:1], v[228:229], v[156:157]
	s_mov_b32 s9, 0x3febb67a
	s_mov_b32 s8, s2
	v_add_f64 v[58:59], v[22:23], -v[18:19]
	v_fma_f64 v[36:37], v[218:219], v[154:155], -v[36:37]
	v_mul_f64 v[48:49], v[253:254], v[172:173]
	v_fma_f64 v[38:39], v[230:231], v[164:165], v[38:39]
	v_add_f64 v[64:65], v[24:25], -v[34:35]
	v_fma_f64 v[50:51], v[226:227], v[158:159], -v[0:1]
	v_add_f64 v[0:1], v[4:5], v[28:29]
	v_add_f64 v[28:29], v[28:29], -v[12:13]
	v_add_f64 v[60:61], v[26:27], -v[36:37]
	v_fma_f64 v[48:49], v[251:252], v[174:175], -v[48:49]
	v_add_f64 v[62:63], v[38:39], v[46:47]
	s_waitcnt vmcnt(0)
	s_barrier
	v_add_f64 v[66:67], v[42:43], -v[50:51]
	v_add_f64 v[0:1], v[0:1], v[12:13]
	s_mov_b32 s11, 0x3fee6f0e
	s_mov_b32 s17, 0x3fe2cf23
	;; [unrolled: 1-line block ×3, first 2 shown]
	v_fma_f64 v[62:63], v[62:63], -0.5, v[148:149]
	s_mov_b32 s19, 0x3fd3c6ef
	v_mul_f64 v[30:31], v[56:57], v[170:171]
	v_mul_f64 v[32:33], v[56:57], v[168:169]
	v_fma_f64 v[56:57], v[251:252], v[172:173], v[44:45]
	v_add_f64 v[44:45], v[20:21], v[16:17]
	v_fma_f64 v[52:53], v[54:55], v[168:169], v[30:31]
	v_fma_f64 v[54:55], v[54:55], v[170:171], -v[32:33]
	v_add_f64 v[32:33], v[2:3], v[14:15]
	v_fma_f64 v[30:31], v[40:41], -0.5, v[4:5]
	v_add_f64 v[40:41], v[2:3], -v[14:15]
	v_add_f64 v[2:3], v[6:7], v[2:3]
	v_fma_f64 v[44:45], v[44:45], -0.5, v[8:9]
	v_fma_f64 v[32:33], v[32:33], -0.5, v[6:7]
	v_fma_f64 v[4:5], v[40:41], s[2:3], v[30:31]
	v_fma_f64 v[12:13], v[40:41], s[8:9], v[30:31]
	v_add_f64 v[30:31], v[8:9], v[20:21]
	v_add_f64 v[40:41], v[22:23], v[18:19]
	;; [unrolled: 1-line block ×4, first 2 shown]
	v_fma_f64 v[6:7], v[28:29], s[8:9], v[32:33]
	v_fma_f64 v[14:15], v[28:29], s[2:3], v[32:33]
	v_add_f64 v[28:29], v[24:25], v[34:35]
	v_add_f64 v[32:33], v[20:21], -v[16:17]
	v_add_f64 v[8:9], v[30:31], v[16:17]
	v_fma_f64 v[30:31], v[40:41], -0.5, v[10:11]
	v_fma_f64 v[16:17], v[58:59], s[2:3], v[44:45]
	v_fma_f64 v[20:21], v[58:59], s[8:9], v[44:45]
	v_add_f64 v[40:41], v[26:27], v[36:37]
	v_add_f64 v[44:45], v[144:145], v[24:25]
	v_fma_f64 v[58:59], v[28:29], -0.5, v[144:145]
	v_add_f64 v[26:27], v[146:147], v[26:27]
	v_add_f64 v[10:11], v[22:23], v[18:19]
	v_fma_f64 v[18:19], v[32:33], s[8:9], v[30:31]
	v_fma_f64 v[22:23], v[32:33], s[2:3], v[30:31]
	v_fma_f64 v[40:41], v[40:41], -0.5, v[146:147]
	v_add_f64 v[24:25], v[44:45], v[34:35]
	v_add_f64 v[44:45], v[148:149], v[38:39]
	v_fma_f64 v[28:29], v[60:61], s[2:3], v[58:59]
	v_fma_f64 v[32:33], v[60:61], s[8:9], v[58:59]
	v_add_f64 v[58:59], v[42:43], v[50:51]
	v_add_f64 v[26:27], v[26:27], v[36:37]
	;; [unrolled: 1-line block ×3, first 2 shown]
	v_fma_f64 v[30:31], v[64:65], s[8:9], v[40:41]
	v_fma_f64 v[34:35], v[64:65], s[2:3], v[40:41]
	v_add_f64 v[36:37], v[44:45], v[46:47]
	v_fma_f64 v[40:41], v[66:67], s[2:3], v[62:63]
	v_fma_f64 v[44:45], v[66:67], s[8:9], v[62:63]
	v_add_f64 v[62:63], v[54:55], v[48:49]
	v_add_f64 v[42:43], v[150:151], v[42:43]
	v_fma_f64 v[58:59], v[58:59], -0.5, v[150:151]
	v_add_f64 v[46:47], v[38:39], -v[46:47]
	v_add_f64 v[64:65], v[160:161], v[52:53]
	v_fma_f64 v[60:61], v[60:61], -0.5, v[160:161]
	v_add_f64 v[66:67], v[54:55], -v[48:49]
	;; [unrolled: 3-line block ×3, first 2 shown]
	v_add_f64 v[38:39], v[42:43], v[50:51]
	v_fma_f64 v[42:43], v[46:47], s[8:9], v[58:59]
	v_fma_f64 v[46:47], v[46:47], s[2:3], v[58:59]
	v_add_f64 v[144:145], v[64:65], v[56:57]
	v_fma_f64 v[148:149], v[66:67], s[2:3], v[60:61]
	v_fma_f64 v[152:153], v[66:67], s[8:9], v[60:61]
	;; [unrolled: 3-line block ×3, first 2 shown]
	ds_write_b128 v234, v[0:3]
	ds_write_b128 v234, v[4:7] offset:272
	ds_write_b128 v234, v[12:15] offset:544
	ds_write_b128 v235, v[8:11]
	ds_write_b128 v235, v[16:19] offset:272
	ds_write_b128 v235, v[20:23] offset:544
	;; [unrolled: 3-line block ×5, first 2 shown]
	s_waitcnt lgkmcnt(0)
	s_barrier
	ds_read_b128 v[0:3], v255
	ds_read_b128 v[4:7], v255 offset:1360
	ds_read_b128 v[8:11], v255 offset:8160
	ds_read_b128 v[12:15], v255 offset:9520
	ds_read_b128 v[16:19], v255 offset:16320
	ds_read_b128 v[20:23], v255 offset:17680
	ds_read_b128 v[24:27], v255 offset:4080
	ds_read_b128 v[28:31], v255 offset:2720
	ds_read_b128 v[32:35], v255 offset:5440
	ds_read_b128 v[36:39], v255 offset:6800
	ds_read_b128 v[40:43], v255 offset:12240
	ds_read_b128 v[44:47], v255 offset:10880
	s_waitcnt lgkmcnt(5)
	v_mul_f64 v[48:49], v[84:85], v[26:27]
	v_mul_f64 v[50:51], v[84:85], v[24:25]
	;; [unrolled: 1-line block ×3, first 2 shown]
	ds_read_b128 v[144:147], v255 offset:13600
	ds_read_b128 v[148:151], v255 offset:14960
	;; [unrolled: 1-line block ×3, first 2 shown]
	v_mul_f64 v[52:53], v[80:81], v[10:11]
	v_mul_f64 v[54:55], v[80:81], v[8:9]
	s_waitcnt lgkmcnt(4)
	v_mul_f64 v[56:57], v[76:77], v[42:43]
	v_mul_f64 v[58:59], v[76:77], v[40:41]
	v_fma_f64 v[24:25], v[82:83], v[24:25], v[48:49]
	v_mul_f64 v[48:49], v[70:71], v[18:19]
	buffer_load_dword v70, off, s[64:67], 0 offset:52 ; 4-byte Folded Reload
	buffer_load_dword v71, off, s[64:67], 0 offset:56 ; 4-byte Folded Reload
	;; [unrolled: 1-line block ×4, first 2 shown]
	v_fma_f64 v[18:19], v[68:69], v[18:19], -v[60:61]
	v_fma_f64 v[26:27], v[82:83], v[26:27], -v[50:51]
	v_fma_f64 v[50:51], v[78:79], v[8:9], v[52:53]
	v_fma_f64 v[52:53], v[78:79], v[10:11], -v[54:55]
	v_fma_f64 v[10:11], v[74:75], v[40:41], v[56:57]
	;; [unrolled: 2-line block ×3, first 2 shown]
	buffer_load_dword v66, off, s[64:67], 0 offset:36 ; 4-byte Folded Reload
	buffer_load_dword v67, off, s[64:67], 0 offset:40 ; 4-byte Folded Reload
	;; [unrolled: 1-line block ×8, first 2 shown]
	v_mul_f64 v[60:61], v[92:93], v[20:21]
	s_mov_b32 s2, 0x134454ff
	s_mov_b32 s3, 0xbfee6f0e
	;; [unrolled: 1-line block ×5, first 2 shown]
	v_add_f64 v[80:81], v[10:11], -v[16:17]
	s_mov_b32 s16, s8
	v_fma_f64 v[60:61], v[90:91], v[22:23], -v[60:61]
	s_waitcnt vmcnt(8)
	v_mul_f64 v[42:43], v[72:73], v[32:33]
	v_mul_f64 v[8:9], v[72:73], v[34:35]
	s_waitcnt vmcnt(4)
	v_mul_f64 v[48:49], v[68:69], v[14:15]
	v_mul_f64 v[54:55], v[68:69], v[12:13]
	v_fma_f64 v[34:35], v[70:71], v[34:35], -v[42:43]
	v_fma_f64 v[32:33], v[70:71], v[32:33], v[8:9]
	s_waitcnt vmcnt(0) lgkmcnt(2)
	v_mul_f64 v[56:57], v[64:65], v[146:147]
	v_mul_f64 v[58:59], v[64:65], v[144:145]
	;; [unrolled: 1-line block ×3, first 2 shown]
	v_fma_f64 v[42:43], v[66:67], v[12:13], v[48:49]
	v_fma_f64 v[48:49], v[66:67], v[14:15], -v[54:55]
	buffer_load_dword v66, off, s[64:67], 0 offset:100 ; 4-byte Folded Reload
	buffer_load_dword v67, off, s[64:67], 0 offset:104 ; 4-byte Folded Reload
	;; [unrolled: 1-line block ×12, first 2 shown]
	v_fma_f64 v[54:55], v[62:63], v[144:145], v[56:57]
	v_fma_f64 v[56:57], v[62:63], v[146:147], -v[58:59]
	v_fma_f64 v[58:59], v[90:91], v[20:21], v[8:9]
	v_add_f64 v[20:21], v[0:1], v[24:25]
	v_add_f64 v[62:63], v[50:51], v[10:11]
	s_waitcnt vmcnt(0) lgkmcnt(0)
	s_barrier
	v_add_f64 v[82:83], v[54:55], -v[58:59]
	v_mul_f64 v[12:13], v[68:69], v[38:39]
	v_mul_f64 v[8:9], v[68:69], v[36:37]
	;; [unrolled: 1-line block ×4, first 2 shown]
	v_fma_f64 v[64:65], v[66:67], v[36:37], v[12:13]
	v_mul_f64 v[12:13], v[72:73], v[150:151]
	v_mul_f64 v[36:37], v[72:73], v[148:149]
	v_fma_f64 v[66:67], v[66:67], v[38:39], -v[8:9]
	v_fma_f64 v[68:69], v[74:75], v[44:45], v[14:15]
	v_add_f64 v[8:9], v[20:21], v[50:51]
	v_fma_f64 v[14:15], v[62:63], -0.5, v[0:1]
	v_add_f64 v[20:21], v[26:27], -v[18:19]
	v_add_f64 v[38:39], v[52:53], -v[40:41]
	v_fma_f64 v[62:63], v[70:71], v[148:149], v[12:13]
	v_fma_f64 v[70:71], v[70:71], v[150:151], -v[36:37]
	v_mul_f64 v[12:13], v[88:89], v[154:155]
	v_add_f64 v[44:45], v[24:25], v[16:17]
	v_fma_f64 v[46:47], v[74:75], v[46:47], -v[22:23]
	v_mul_f64 v[22:23], v[88:89], v[152:153]
	v_fma_f64 v[36:37], v[20:21], s[2:3], v[14:15]
	v_add_f64 v[72:73], v[24:25], -v[50:51]
	v_add_f64 v[74:75], v[16:17], -v[10:11]
	v_add_f64 v[8:9], v[8:9], v[10:11]
	v_fma_f64 v[76:77], v[86:87], v[152:153], v[12:13]
	v_fma_f64 v[0:1], v[44:45], -0.5, v[0:1]
	v_add_f64 v[44:45], v[52:53], v[40:41]
	v_fma_f64 v[78:79], v[86:87], v[154:155], -v[22:23]
	v_fma_f64 v[12:13], v[38:39], s[8:9], v[36:37]
	v_add_f64 v[36:37], v[2:3], v[26:27]
	v_add_f64 v[22:23], v[72:73], v[74:75]
	v_fma_f64 v[14:15], v[20:21], s[10:11], v[14:15]
	v_add_f64 v[74:75], v[50:51], -v[24:25]
	v_fma_f64 v[72:73], v[38:39], s[10:11], v[0:1]
	v_fma_f64 v[0:1], v[38:39], s[2:3], v[0:1]
	v_add_f64 v[8:9], v[8:9], v[16:17]
	v_fma_f64 v[44:45], v[44:45], -0.5, v[2:3]
	v_add_f64 v[36:37], v[36:37], v[52:53]
	v_add_f64 v[24:25], v[24:25], -v[16:17]
	v_fma_f64 v[14:15], v[38:39], s[16:17], v[14:15]
	v_add_f64 v[38:39], v[74:75], v[80:81]
	v_fma_f64 v[16:17], v[20:21], s[8:9], v[72:73]
	v_fma_f64 v[20:21], v[20:21], s[16:17], v[0:1]
	v_add_f64 v[74:75], v[26:27], v[18:19]
	v_add_f64 v[50:51], v[50:51], -v[10:11]
	v_add_f64 v[36:37], v[36:37], v[40:41]
	v_fma_f64 v[72:73], v[24:25], s[10:11], v[44:45]
	v_fma_f64 v[0:1], v[22:23], s[18:19], v[12:13]
	;; [unrolled: 1-line block ×5, first 2 shown]
	v_fma_f64 v[2:3], v[74:75], -0.5, v[2:3]
	v_add_f64 v[22:23], v[26:27], -v[52:53]
	v_add_f64 v[10:11], v[36:37], v[18:19]
	v_add_f64 v[36:37], v[18:19], -v[40:41]
	v_add_f64 v[38:39], v[4:5], v[32:33]
	v_fma_f64 v[14:15], v[50:51], s[16:17], v[72:73]
	v_fma_f64 v[44:45], v[24:25], s[2:3], v[44:45]
	v_add_f64 v[72:73], v[42:43], v[54:55]
	v_fma_f64 v[74:75], v[50:51], s[2:3], v[2:3]
	v_add_f64 v[26:27], v[52:53], -v[26:27]
	v_add_f64 v[18:19], v[40:41], -v[18:19]
	v_fma_f64 v[2:3], v[50:51], s[10:11], v[2:3]
	v_add_f64 v[22:23], v[22:23], v[36:37]
	v_add_f64 v[36:37], v[38:39], v[42:43]
	v_fma_f64 v[38:39], v[50:51], s[8:9], v[44:45]
	v_fma_f64 v[40:41], v[72:73], -0.5, v[4:5]
	v_add_f64 v[44:45], v[34:35], -v[60:61]
	v_fma_f64 v[50:51], v[24:25], s[16:17], v[74:75]
	v_add_f64 v[26:27], v[26:27], v[18:19]
	v_fma_f64 v[24:25], v[24:25], s[8:9], v[2:3]
	v_add_f64 v[52:53], v[32:33], v[58:59]
	v_add_f64 v[36:37], v[36:37], v[54:55]
	v_fma_f64 v[2:3], v[22:23], s[18:19], v[14:15]
	v_fma_f64 v[14:15], v[22:23], s[18:19], v[38:39]
	;; [unrolled: 1-line block ×3, first 2 shown]
	v_add_f64 v[72:73], v[48:49], -v[56:57]
	v_fma_f64 v[18:19], v[26:27], s[18:19], v[50:51]
	v_fma_f64 v[22:23], v[26:27], s[18:19], v[24:25]
	v_fma_f64 v[24:25], v[52:53], -0.5, v[4:5]
	v_add_f64 v[4:5], v[36:37], v[58:59]
	v_add_f64 v[26:27], v[32:33], -v[42:43]
	v_add_f64 v[36:37], v[58:59], -v[54:55]
	v_fma_f64 v[40:41], v[44:45], s[10:11], v[40:41]
	v_fma_f64 v[38:39], v[72:73], s[8:9], v[38:39]
	v_add_f64 v[80:81], v[42:43], -v[32:33]
	v_add_f64 v[50:51], v[6:7], v[34:35]
	v_fma_f64 v[74:75], v[72:73], s[10:11], v[24:25]
	v_add_f64 v[52:53], v[48:49], v[56:57]
	v_add_f64 v[58:59], v[32:33], -v[58:59]
	v_add_f64 v[26:27], v[26:27], v[36:37]
	v_fma_f64 v[36:37], v[72:73], s[16:17], v[40:41]
	v_fma_f64 v[40:41], v[72:73], s[2:3], v[24:25]
	v_add_f64 v[42:43], v[42:43], -v[54:55]
	v_add_f64 v[50:51], v[50:51], v[48:49]
	v_fma_f64 v[72:73], v[44:45], s[8:9], v[74:75]
	v_add_f64 v[74:75], v[80:81], v[82:83]
	v_fma_f64 v[52:53], v[52:53], -0.5, v[6:7]
	v_fma_f64 v[24:25], v[26:27], s[18:19], v[38:39]
	v_fma_f64 v[32:33], v[26:27], s[18:19], v[36:37]
	v_fma_f64 v[26:27], v[44:45], s[16:17], v[40:41]
	v_add_f64 v[44:45], v[34:35], v[60:61]
	v_add_f64 v[38:39], v[50:51], v[56:57]
	;; [unrolled: 1-line block ×3, first 2 shown]
	v_fma_f64 v[36:37], v[74:75], s[18:19], v[72:73]
	v_fma_f64 v[50:51], v[58:59], s[10:11], v[52:53]
	v_add_f64 v[72:73], v[34:35], -v[48:49]
	v_add_f64 v[80:81], v[60:61], -v[56:57]
	v_fma_f64 v[40:41], v[74:75], s[18:19], v[26:27]
	v_fma_f64 v[26:27], v[44:45], -0.5, v[6:7]
	v_fma_f64 v[52:53], v[58:59], s[2:3], v[52:53]
	v_add_f64 v[34:35], v[48:49], -v[34:35]
	v_add_f64 v[48:49], v[56:57], -v[60:61]
	v_add_f64 v[6:7], v[38:39], v[60:61]
	v_fma_f64 v[38:39], v[42:43], s[16:17], v[50:51]
	v_add_f64 v[44:45], v[28:29], v[64:65]
	v_fma_f64 v[50:51], v[54:55], -0.5, v[28:29]
	v_fma_f64 v[74:75], v[42:43], s[2:3], v[26:27]
	v_fma_f64 v[26:27], v[42:43], s[10:11], v[26:27]
	v_add_f64 v[54:55], v[66:67], -v[78:79]
	v_add_f64 v[72:73], v[72:73], v[80:81]
	v_fma_f64 v[42:43], v[42:43], s[8:9], v[52:53]
	v_add_f64 v[48:49], v[34:35], v[48:49]
	v_add_f64 v[44:45], v[44:45], v[68:69]
	v_add_f64 v[60:61], v[46:47], -v[70:71]
	v_fma_f64 v[74:75], v[58:59], s[16:17], v[74:75]
	v_fma_f64 v[58:59], v[58:59], s[8:9], v[26:27]
	v_fma_f64 v[56:57], v[54:55], s[2:3], v[50:51]
	v_add_f64 v[80:81], v[64:65], -v[68:69]
	v_add_f64 v[82:83], v[76:77], -v[62:63]
	v_add_f64 v[52:53], v[64:65], v[76:77]
	v_fma_f64 v[26:27], v[72:73], s[18:19], v[38:39]
	v_fma_f64 v[34:35], v[72:73], s[18:19], v[42:43]
	;; [unrolled: 1-line block ×4, first 2 shown]
	v_add_f64 v[48:49], v[46:47], v[70:71]
	v_add_f64 v[72:73], v[66:67], v[78:79]
	;; [unrolled: 1-line block ×3, first 2 shown]
	v_fma_f64 v[56:57], v[60:61], s[8:9], v[56:57]
	v_add_f64 v[80:81], v[80:81], v[82:83]
	v_fma_f64 v[52:53], v[52:53], -0.5, v[28:29]
	v_fma_f64 v[50:51], v[54:55], s[10:11], v[50:51]
	v_add_f64 v[58:59], v[68:69], -v[64:65]
	v_add_f64 v[74:75], v[62:63], -v[76:77]
	v_add_f64 v[82:83], v[30:31], v[66:67]
	v_fma_f64 v[48:49], v[48:49], -0.5, v[30:31]
	v_add_f64 v[64:65], v[64:65], -v[76:77]
	v_add_f64 v[62:63], v[68:69], -v[62:63]
	v_fma_f64 v[30:31], v[72:73], -0.5, v[30:31]
	v_add_f64 v[28:29], v[44:45], v[76:77]
	v_fma_f64 v[44:45], v[80:81], s[18:19], v[56:57]
	v_fma_f64 v[56:57], v[60:61], s[10:11], v[52:53]
	;; [unrolled: 1-line block ×3, first 2 shown]
	v_add_f64 v[58:59], v[58:59], v[74:75]
	v_fma_f64 v[52:53], v[60:61], s[2:3], v[52:53]
	v_add_f64 v[60:61], v[82:83], v[46:47]
	v_fma_f64 v[68:69], v[64:65], s[10:11], v[48:49]
	v_add_f64 v[72:73], v[66:67], -v[46:47]
	v_add_f64 v[74:75], v[78:79], -v[70:71]
	v_fma_f64 v[48:49], v[64:65], s[2:3], v[48:49]
	v_fma_f64 v[76:77], v[62:63], s[2:3], v[30:31]
	v_add_f64 v[46:47], v[46:47], -v[66:67]
	v_add_f64 v[66:67], v[70:71], -v[78:79]
	v_fma_f64 v[30:31], v[62:63], s[10:11], v[30:31]
	v_fma_f64 v[56:57], v[54:55], s[8:9], v[56:57]
	;; [unrolled: 1-line block ×3, first 2 shown]
	v_add_f64 v[60:61], v[60:61], v[70:71]
	v_fma_f64 v[68:69], v[62:63], s[16:17], v[68:69]
	v_add_f64 v[70:71], v[72:73], v[74:75]
	v_fma_f64 v[62:63], v[62:63], s[8:9], v[48:49]
	v_fma_f64 v[72:73], v[64:65], s[16:17], v[76:77]
	v_add_f64 v[66:67], v[46:47], v[66:67]
	v_fma_f64 v[64:65], v[64:65], s[8:9], v[30:31]
	v_fma_f64 v[48:49], v[80:81], s[18:19], v[50:51]
	;; [unrolled: 1-line block ×4, first 2 shown]
	v_add_f64 v[30:31], v[60:61], v[78:79]
	v_fma_f64 v[46:47], v[70:71], s[18:19], v[68:69]
	v_fma_f64 v[50:51], v[70:71], s[18:19], v[62:63]
	;; [unrolled: 1-line block ×4, first 2 shown]
	ds_write_b128 v94, v[8:11]
	ds_write_b128 v94, v[0:3] offset:816
	ds_write_b128 v94, v[16:19] offset:1632
	ds_write_b128 v94, v[20:23] offset:2448
	ds_write_b128 v94, v[12:15] offset:3264
	ds_write_b128 v95, v[4:7]
	ds_write_b128 v95, v[24:27] offset:816
	ds_write_b128 v95, v[36:39] offset:1632
	ds_write_b128 v95, v[40:43] offset:2448
	ds_write_b128 v95, v[32:35] offset:3264
	;; [unrolled: 5-line block ×3, first 2 shown]
	s_waitcnt lgkmcnt(0)
	s_barrier
	ds_read_b128 v[0:3], v255 offset:4080
	ds_read_b128 v[4:7], v255
	ds_read_b128 v[8:11], v255 offset:1360
	ds_read_b128 v[12:15], v255 offset:8160
	;; [unrolled: 1-line block ×13, first 2 shown]
	buffer_load_dword v78, off, s[64:67], 0 offset:132 ; 4-byte Folded Reload
	buffer_load_dword v79, off, s[64:67], 0 offset:136 ; 4-byte Folded Reload
	buffer_load_dword v80, off, s[64:67], 0 offset:140 ; 4-byte Folded Reload
	buffer_load_dword v81, off, s[64:67], 0 offset:144 ; 4-byte Folded Reload
	buffer_load_dword v74, off, s[64:67], 0 offset:116 ; 4-byte Folded Reload
	buffer_load_dword v75, off, s[64:67], 0 offset:120 ; 4-byte Folded Reload
	buffer_load_dword v76, off, s[64:67], 0 offset:124 ; 4-byte Folded Reload
	buffer_load_dword v77, off, s[64:67], 0 offset:128 ; 4-byte Folded Reload
	s_waitcnt lgkmcnt(14)
	v_mul_f64 v[60:61], v[118:119], v[2:3]
	v_mul_f64 v[62:63], v[118:119], v[0:1]
	s_waitcnt lgkmcnt(11)
	v_mul_f64 v[64:65], v[106:107], v[14:15]
	v_mul_f64 v[66:67], v[106:107], v[12:13]
	s_waitcnt lgkmcnt(10)
	v_mul_f64 v[72:73], v[134:135], v[18:19]
	s_waitcnt lgkmcnt(6)
	v_mul_f64 v[68:69], v[138:139], v[34:35]
	v_mul_f64 v[70:71], v[138:139], v[32:33]
	v_fma_f64 v[0:1], v[116:117], v[0:1], v[60:61]
	v_fma_f64 v[60:61], v[116:117], v[2:3], -v[62:63]
	v_fma_f64 v[2:3], v[104:105], v[12:13], v[64:65]
	v_fma_f64 v[14:15], v[104:105], v[14:15], -v[66:67]
	v_fma_f64 v[32:33], v[136:137], v[32:33], v[68:69]
	s_waitcnt lgkmcnt(5)
	v_mul_f64 v[68:69], v[142:143], v[38:39]
	v_fma_f64 v[34:35], v[136:137], v[34:35], -v[70:71]
	v_mul_f64 v[70:71], v[142:143], v[36:37]
	s_waitcnt vmcnt(4) lgkmcnt(4)
	v_mul_f64 v[12:13], v[80:81], v[42:43]
	v_mul_f64 v[62:63], v[80:81], v[40:41]
	s_waitcnt vmcnt(0)
	v_mul_f64 v[64:65], v[76:77], v[22:23]
	v_mul_f64 v[66:67], v[76:77], v[20:21]
	v_fma_f64 v[12:13], v[78:79], v[40:41], v[12:13]
	v_mul_f64 v[40:41], v[134:135], v[16:17]
	v_fma_f64 v[42:43], v[78:79], v[42:43], -v[62:63]
	v_fma_f64 v[62:63], v[132:133], v[16:17], v[72:73]
	s_waitcnt lgkmcnt(2)
	v_mul_f64 v[16:17], v[114:115], v[50:51]
	v_fma_f64 v[20:21], v[74:75], v[20:21], v[64:65]
	v_fma_f64 v[22:23], v[74:75], v[22:23], -v[66:67]
	v_mul_f64 v[66:67], v[110:111], v[24:25]
	v_mul_f64 v[72:73], v[130:131], v[46:47]
	v_fma_f64 v[64:65], v[132:133], v[18:19], -v[40:41]
	v_mul_f64 v[18:19], v[114:115], v[48:49]
	v_mul_f64 v[40:41], v[110:111], v[26:27]
	v_fma_f64 v[48:49], v[112:113], v[48:49], v[16:17]
	v_add_f64 v[16:17], v[2:3], v[12:13]
	v_add_f64 v[76:77], v[0:1], v[20:21]
	v_fma_f64 v[26:27], v[108:109], v[26:27], -v[66:67]
	v_fma_f64 v[66:67], v[140:141], v[36:37], v[68:69]
	v_add_f64 v[36:37], v[60:61], -v[22:23]
	v_fma_f64 v[50:51], v[112:113], v[50:51], -v[18:19]
	v_fma_f64 v[24:25], v[108:109], v[24:25], v[40:41]
	v_fma_f64 v[68:69], v[140:141], v[38:39], -v[70:71]
	v_fma_f64 v[16:17], v[16:17], -0.5, v[4:5]
	v_fma_f64 v[70:71], v[128:129], v[44:45], v[72:73]
	v_add_f64 v[18:19], v[4:5], v[0:1]
	v_mul_f64 v[38:39], v[130:131], v[44:45]
	s_waitcnt lgkmcnt(1)
	v_mul_f64 v[40:41], v[126:127], v[54:55]
	v_mul_f64 v[44:45], v[126:127], v[52:53]
	s_waitcnt lgkmcnt(0)
	v_mul_f64 v[74:75], v[122:123], v[56:57]
	v_add_f64 v[80:81], v[14:15], -v[42:43]
	v_fma_f64 v[78:79], v[36:37], s[2:3], v[16:17]
	v_fma_f64 v[4:5], v[76:77], -0.5, v[4:5]
	v_mul_f64 v[72:73], v[122:123], v[58:59]
	v_add_f64 v[18:19], v[18:19], v[2:3]
	v_fma_f64 v[46:47], v[128:129], v[46:47], -v[38:39]
	v_fma_f64 v[52:53], v[124:125], v[52:53], v[40:41]
	v_fma_f64 v[54:55], v[124:125], v[54:55], -v[44:45]
	v_fma_f64 v[58:59], v[120:121], v[58:59], -v[74:75]
	v_fma_f64 v[38:39], v[80:81], s[8:9], v[78:79]
	v_add_f64 v[40:41], v[0:1], -v[2:3]
	v_add_f64 v[44:45], v[6:7], v[60:61]
	v_add_f64 v[74:75], v[20:21], -v[12:13]
	v_fma_f64 v[16:17], v[36:37], s[10:11], v[16:17]
	v_fma_f64 v[76:77], v[80:81], s[10:11], v[4:5]
	v_add_f64 v[78:79], v[2:3], -v[0:1]
	v_add_f64 v[82:83], v[12:13], -v[20:21]
	v_fma_f64 v[4:5], v[80:81], s[2:3], v[4:5]
	v_fma_f64 v[56:57], v[120:121], v[56:57], v[72:73]
	v_add_f64 v[18:19], v[18:19], v[12:13]
	v_add_f64 v[72:73], v[14:15], v[42:43]
	;; [unrolled: 1-line block ×4, first 2 shown]
	v_fma_f64 v[16:17], v[80:81], s[16:17], v[16:17]
	v_fma_f64 v[74:75], v[36:37], s[8:9], v[76:77]
	v_add_f64 v[76:77], v[78:79], v[82:83]
	v_fma_f64 v[36:37], v[36:37], s[16:17], v[4:5]
	v_add_f64 v[78:79], v[60:61], v[22:23]
	v_fma_f64 v[72:73], v[72:73], -0.5, v[6:7]
	v_add_f64 v[84:85], v[0:1], -v[20:21]
	v_add_f64 v[44:45], v[44:45], v[42:43]
	v_add_f64 v[82:83], v[2:3], -v[12:13]
	v_add_f64 v[0:1], v[18:19], v[20:21]
	v_fma_f64 v[4:5], v[40:41], s[18:19], v[38:39]
	v_fma_f64 v[12:13], v[40:41], s[18:19], v[16:17]
	;; [unrolled: 1-line block ×3, first 2 shown]
	v_fma_f64 v[6:7], v[78:79], -0.5, v[6:7]
	v_add_f64 v[36:37], v[60:61], -v[14:15]
	v_add_f64 v[38:39], v[22:23], -v[42:43]
	v_add_f64 v[40:41], v[8:9], v[32:33]
	v_fma_f64 v[80:81], v[84:85], s[10:11], v[72:73]
	v_fma_f64 v[16:17], v[76:77], s[18:19], v[74:75]
	v_add_f64 v[2:3], v[44:45], v[22:23]
	v_fma_f64 v[44:45], v[84:85], s[2:3], v[72:73]
	v_add_f64 v[72:73], v[62:63], v[48:49]
	v_fma_f64 v[74:75], v[82:83], s[2:3], v[6:7]
	v_add_f64 v[14:15], v[14:15], -v[60:61]
	v_add_f64 v[22:23], v[42:43], -v[22:23]
	v_fma_f64 v[6:7], v[82:83], s[10:11], v[6:7]
	v_add_f64 v[36:37], v[36:37], v[38:39]
	v_add_f64 v[38:39], v[40:41], v[62:63]
	v_fma_f64 v[18:19], v[82:83], s[16:17], v[80:81]
	v_fma_f64 v[40:41], v[82:83], s[8:9], v[44:45]
	v_fma_f64 v[42:43], v[72:73], -0.5, v[8:9]
	v_add_f64 v[44:45], v[34:35], -v[26:27]
	v_fma_f64 v[60:61], v[84:85], s[16:17], v[74:75]
	v_add_f64 v[22:23], v[14:15], v[22:23]
	v_fma_f64 v[72:73], v[84:85], s[8:9], v[6:7]
	v_add_f64 v[74:75], v[32:33], v[24:25]
	v_add_f64 v[38:39], v[38:39], v[48:49]
	v_fma_f64 v[6:7], v[36:37], s[18:19], v[18:19]
	v_fma_f64 v[14:15], v[36:37], s[18:19], v[40:41]
	;; [unrolled: 1-line block ×3, first 2 shown]
	v_add_f64 v[40:41], v[64:65], -v[50:51]
	v_fma_f64 v[18:19], v[22:23], s[18:19], v[60:61]
	v_fma_f64 v[22:23], v[22:23], s[18:19], v[72:73]
	v_fma_f64 v[60:61], v[74:75], -0.5, v[8:9]
	v_add_f64 v[8:9], v[38:39], v[24:25]
	v_add_f64 v[38:39], v[32:33], -v[62:63]
	v_add_f64 v[72:73], v[24:25], -v[48:49]
	v_fma_f64 v[42:43], v[44:45], s[10:11], v[42:43]
	v_add_f64 v[74:75], v[10:11], v[34:35]
	v_add_f64 v[76:77], v[64:65], v[50:51]
	v_fma_f64 v[36:37], v[40:41], s[8:9], v[36:37]
	v_fma_f64 v[78:79], v[40:41], s[10:11], v[60:61]
	v_add_f64 v[80:81], v[62:63], -v[32:33]
	v_add_f64 v[82:83], v[48:49], -v[24:25]
	v_add_f64 v[38:39], v[38:39], v[72:73]
	v_fma_f64 v[42:43], v[40:41], s[16:17], v[42:43]
	v_fma_f64 v[40:41], v[40:41], s[2:3], v[60:61]
	v_add_f64 v[60:61], v[74:75], v[64:65]
	v_fma_f64 v[72:73], v[76:77], -0.5, v[10:11]
	v_add_f64 v[74:75], v[32:33], -v[24:25]
	v_fma_f64 v[76:77], v[44:45], s[8:9], v[78:79]
	v_add_f64 v[78:79], v[80:81], v[82:83]
	v_fma_f64 v[24:25], v[38:39], s[18:19], v[36:37]
	v_fma_f64 v[32:33], v[38:39], s[18:19], v[42:43]
	;; [unrolled: 1-line block ×3, first 2 shown]
	v_add_f64 v[42:43], v[60:61], v[50:51]
	v_add_f64 v[44:45], v[34:35], v[26:27]
	v_fma_f64 v[60:61], v[74:75], s[10:11], v[72:73]
	v_add_f64 v[48:49], v[62:63], -v[48:49]
	v_add_f64 v[62:63], v[70:71], v[52:53]
	v_fma_f64 v[36:37], v[78:79], s[18:19], v[76:77]
	v_add_f64 v[76:77], v[34:35], -v[64:65]
	v_add_f64 v[80:81], v[26:27], -v[50:51]
	v_fma_f64 v[40:41], v[78:79], s[18:19], v[38:39]
	v_fma_f64 v[38:39], v[44:45], -0.5, v[10:11]
	v_add_f64 v[10:11], v[42:43], v[26:27]
	v_fma_f64 v[42:43], v[48:49], s[16:17], v[60:61]
	v_add_f64 v[44:45], v[28:29], v[66:67]
	v_fma_f64 v[60:61], v[62:63], -0.5, v[28:29]
	v_add_f64 v[62:63], v[68:69], -v[58:59]
	v_fma_f64 v[72:73], v[74:75], s[2:3], v[72:73]
	v_add_f64 v[76:77], v[76:77], v[80:81]
	v_fma_f64 v[78:79], v[48:49], s[2:3], v[38:39]
	v_add_f64 v[34:35], v[64:65], -v[34:35]
	v_add_f64 v[26:27], v[50:51], -v[26:27]
	v_fma_f64 v[38:39], v[48:49], s[10:11], v[38:39]
	v_add_f64 v[44:45], v[44:45], v[70:71]
	v_fma_f64 v[50:51], v[62:63], s[2:3], v[60:61]
	v_add_f64 v[64:65], v[46:47], -v[54:55]
	v_add_f64 v[80:81], v[66:67], -v[70:71]
	;; [unrolled: 1-line block ×3, first 2 shown]
	v_fma_f64 v[48:49], v[48:49], s[8:9], v[72:73]
	v_add_f64 v[72:73], v[66:67], v[56:57]
	v_fma_f64 v[78:79], v[74:75], s[16:17], v[78:79]
	v_add_f64 v[84:85], v[34:35], v[26:27]
	;; [unrolled: 2-line block ×4, first 2 shown]
	v_fma_f64 v[26:27], v[76:77], s[18:19], v[42:43]
	v_fma_f64 v[34:35], v[76:77], s[18:19], v[48:49]
	v_add_f64 v[48:49], v[46:47], v[54:55]
	v_add_f64 v[76:77], v[68:69], v[58:59]
	v_fma_f64 v[72:73], v[72:73], -0.5, v[28:29]
	v_fma_f64 v[38:39], v[84:85], s[18:19], v[78:79]
	v_fma_f64 v[42:43], v[84:85], s[18:19], v[74:75]
	v_add_f64 v[28:29], v[44:45], v[56:57]
	v_fma_f64 v[44:45], v[80:81], s[18:19], v[50:51]
	v_fma_f64 v[50:51], v[62:63], s[10:11], v[60:61]
	v_add_f64 v[74:75], v[70:71], -v[66:67]
	v_add_f64 v[78:79], v[52:53], -v[56:57]
	v_add_f64 v[82:83], v[30:31], v[68:69]
	v_fma_f64 v[48:49], v[48:49], -0.5, v[30:31]
	v_add_f64 v[56:57], v[66:67], -v[56:57]
	v_add_f64 v[52:53], v[70:71], -v[52:53]
	v_fma_f64 v[30:31], v[76:77], -0.5, v[30:31]
	v_fma_f64 v[60:61], v[64:65], s[10:11], v[72:73]
	v_fma_f64 v[50:51], v[64:65], s[16:17], v[50:51]
	v_add_f64 v[66:67], v[74:75], v[78:79]
	v_fma_f64 v[64:65], v[64:65], s[2:3], v[72:73]
	v_add_f64 v[70:71], v[82:83], v[46:47]
	v_fma_f64 v[72:73], v[56:57], s[10:11], v[48:49]
	v_add_f64 v[74:75], v[68:69], -v[46:47]
	v_add_f64 v[76:77], v[58:59], -v[54:55]
	v_fma_f64 v[48:49], v[56:57], s[2:3], v[48:49]
	v_fma_f64 v[78:79], v[52:53], s[2:3], v[30:31]
	v_add_f64 v[46:47], v[46:47], -v[68:69]
	v_add_f64 v[68:69], v[54:55], -v[58:59]
	v_fma_f64 v[30:31], v[52:53], s[10:11], v[30:31]
	v_fma_f64 v[60:61], v[62:63], s[8:9], v[60:61]
	;; [unrolled: 1-line block ×3, first 2 shown]
	v_add_f64 v[54:55], v[70:71], v[54:55]
	v_fma_f64 v[64:65], v[52:53], s[16:17], v[72:73]
	v_add_f64 v[70:71], v[74:75], v[76:77]
	v_fma_f64 v[72:73], v[52:53], s[8:9], v[48:49]
	v_fma_f64 v[74:75], v[56:57], s[16:17], v[78:79]
	v_add_f64 v[68:69], v[46:47], v[68:69]
	v_fma_f64 v[76:77], v[56:57], s[8:9], v[30:31]
	v_fma_f64 v[48:49], v[80:81], s[18:19], v[50:51]
	;; [unrolled: 1-line block ×4, first 2 shown]
	v_add_f64 v[30:31], v[54:55], v[58:59]
	v_fma_f64 v[46:47], v[70:71], s[18:19], v[64:65]
	v_fma_f64 v[50:51], v[70:71], s[18:19], v[72:73]
	;; [unrolled: 1-line block ×4, first 2 shown]
	ds_write_b128 v97, v[0:3]
	ds_write_b128 v240, v[4:7] offset:4080
	ds_write_b128 v240, v[16:19] offset:8160
	;; [unrolled: 1-line block ×14, first 2 shown]
	s_waitcnt lgkmcnt(0)
	s_barrier
	s_and_b64 exec, exec, s[0:1]
	s_cbranch_execz .LBB0_15
; %bb.14:
	global_load_dwordx4 v[0:3], v237, s[12:13]
	ds_read_b128 v[4:7], v97
	v_mad_u64_u32 v[12:13], s[0:1], s6, v238, 0
	v_mad_u64_u32 v[14:15], s[0:1], s4, v239, 0
	ds_read_b128 v[8:11], v240 offset:1200
	s_mul_i32 s3, s5, 0x4b0
	v_mad_u64_u32 v[18:19], s[0:1], s7, v238, v[13:14]
	s_mul_i32 s2, s4, 0x4b0
	v_mov_b32_e32 v13, v18
	s_waitcnt vmcnt(0) lgkmcnt(1)
	v_mul_f64 v[16:17], v[6:7], v[2:3]
	v_mul_f64 v[2:3], v[4:5], v[2:3]
	v_fma_f64 v[4:5], v[4:5], v[0:1], v[16:17]
	v_fma_f64 v[2:3], v[0:1], v[6:7], -v[2:3]
	v_mad_u64_u32 v[19:20], s[0:1], s5, v239, v[15:16]
	s_mov_b32 s0, 0xe68019b3
	s_mov_b32 s1, 0x3f49b34c
	v_lshlrev_b64 v[6:7], 4, v[12:13]
	v_mov_b32_e32 v15, v19
	v_mul_f64 v[0:1], v[4:5], s[0:1]
	v_mul_f64 v[2:3], v[2:3], s[0:1]
	v_mov_b32_e32 v16, s15
	v_lshlrev_b64 v[12:13], 4, v[14:15]
	v_add_co_u32_e32 v4, vcc, s14, v6
	v_addc_co_u32_e32 v5, vcc, v16, v7, vcc
	v_add_co_u32_e32 v4, vcc, v4, v12
	v_addc_co_u32_e32 v5, vcc, v5, v13, vcc
	global_store_dwordx4 v[4:5], v[0:3], off
	global_load_dwordx4 v[0:3], v237, s[12:13] offset:1200
	s_mul_hi_u32 s5, s4, 0x4b0
	s_add_i32 s3, s5, s3
	v_add_co_u32_e32 v12, vcc, s2, v4
	s_movk_i32 s4, 0x1000
	s_waitcnt vmcnt(0) lgkmcnt(0)
	v_mul_f64 v[6:7], v[10:11], v[2:3]
	v_mul_f64 v[2:3], v[8:9], v[2:3]
	v_fma_f64 v[6:7], v[8:9], v[0:1], v[6:7]
	v_fma_f64 v[2:3], v[0:1], v[10:11], -v[2:3]
	v_mul_f64 v[0:1], v[6:7], s[0:1]
	v_mul_f64 v[2:3], v[2:3], s[0:1]
	v_mov_b32_e32 v6, s3
	v_addc_co_u32_e32 v13, vcc, v5, v6, vcc
	global_store_dwordx4 v[12:13], v[0:3], off
	global_load_dwordx4 v[0:3], v237, s[12:13] offset:2400
	ds_read_b128 v[4:7], v240 offset:2400
	ds_read_b128 v[8:11], v240 offset:3600
	s_waitcnt vmcnt(0) lgkmcnt(1)
	v_mul_f64 v[14:15], v[6:7], v[2:3]
	v_mul_f64 v[2:3], v[4:5], v[2:3]
	v_fma_f64 v[4:5], v[4:5], v[0:1], v[14:15]
	v_fma_f64 v[2:3], v[0:1], v[6:7], -v[2:3]
	v_mul_f64 v[0:1], v[4:5], s[0:1]
	v_mul_f64 v[2:3], v[2:3], s[0:1]
	v_mov_b32_e32 v5, s3
	v_add_co_u32_e32 v4, vcc, s2, v12
	v_addc_co_u32_e32 v5, vcc, v13, v5, vcc
	v_mov_b32_e32 v12, s13
	v_add_co_u32_e32 v18, vcc, s12, v237
	global_store_dwordx4 v[4:5], v[0:3], off
	global_load_dwordx4 v[0:3], v237, s[12:13] offset:3600
	v_addc_co_u32_e32 v19, vcc, 0, v12, vcc
	v_add_co_u32_e32 v12, vcc, s4, v18
	v_addc_co_u32_e32 v13, vcc, 0, v19, vcc
	v_add_co_u32_e32 v14, vcc, s2, v4
	s_movk_i32 s4, 0x2000
	s_waitcnt vmcnt(0) lgkmcnt(0)
	v_mul_f64 v[6:7], v[10:11], v[2:3]
	v_mul_f64 v[2:3], v[8:9], v[2:3]
	v_fma_f64 v[6:7], v[8:9], v[0:1], v[6:7]
	v_fma_f64 v[2:3], v[0:1], v[10:11], -v[2:3]
	v_mov_b32_e32 v8, s3
	v_addc_co_u32_e32 v15, vcc, v5, v8, vcc
	v_mul_f64 v[0:1], v[6:7], s[0:1]
	v_mul_f64 v[2:3], v[2:3], s[0:1]
	global_store_dwordx4 v[14:15], v[0:3], off
	global_load_dwordx4 v[0:3], v[12:13], off offset:704
	ds_read_b128 v[4:7], v240 offset:4800
	ds_read_b128 v[8:11], v240 offset:6000
	s_waitcnt vmcnt(0) lgkmcnt(1)
	v_mul_f64 v[16:17], v[6:7], v[2:3]
	v_mul_f64 v[2:3], v[4:5], v[2:3]
	v_fma_f64 v[4:5], v[4:5], v[0:1], v[16:17]
	v_fma_f64 v[2:3], v[0:1], v[6:7], -v[2:3]
	v_mul_f64 v[0:1], v[4:5], s[0:1]
	v_mul_f64 v[2:3], v[2:3], s[0:1]
	v_mov_b32_e32 v5, s3
	v_add_co_u32_e32 v4, vcc, s2, v14
	v_addc_co_u32_e32 v5, vcc, v15, v5, vcc
	v_add_co_u32_e32 v14, vcc, s2, v4
	global_store_dwordx4 v[4:5], v[0:3], off
	global_load_dwordx4 v[0:3], v[12:13], off offset:1904
	s_waitcnt vmcnt(0) lgkmcnt(0)
	v_mul_f64 v[6:7], v[10:11], v[2:3]
	v_mul_f64 v[2:3], v[8:9], v[2:3]
	v_fma_f64 v[6:7], v[8:9], v[0:1], v[6:7]
	v_fma_f64 v[2:3], v[0:1], v[10:11], -v[2:3]
	v_mul_f64 v[0:1], v[6:7], s[0:1]
	v_mul_f64 v[2:3], v[2:3], s[0:1]
	v_mov_b32_e32 v6, s3
	v_addc_co_u32_e32 v15, vcc, v5, v6, vcc
	global_store_dwordx4 v[14:15], v[0:3], off
	global_load_dwordx4 v[0:3], v[12:13], off offset:3104
	ds_read_b128 v[4:7], v240 offset:7200
	ds_read_b128 v[8:11], v240 offset:8400
	s_waitcnt vmcnt(0) lgkmcnt(1)
	v_mul_f64 v[12:13], v[6:7], v[2:3]
	v_mul_f64 v[2:3], v[4:5], v[2:3]
	v_fma_f64 v[4:5], v[4:5], v[0:1], v[12:13]
	v_fma_f64 v[2:3], v[0:1], v[6:7], -v[2:3]
	v_add_co_u32_e32 v12, vcc, s4, v18
	v_addc_co_u32_e32 v13, vcc, 0, v19, vcc
	v_mov_b32_e32 v6, s3
	s_movk_i32 s4, 0x3000
	v_mul_f64 v[0:1], v[4:5], s[0:1]
	v_mul_f64 v[2:3], v[2:3], s[0:1]
	v_add_co_u32_e32 v4, vcc, s2, v14
	v_addc_co_u32_e32 v5, vcc, v15, v6, vcc
	v_add_co_u32_e32 v14, vcc, s2, v4
	global_store_dwordx4 v[4:5], v[0:3], off
	global_load_dwordx4 v[0:3], v[12:13], off offset:208
	s_waitcnt vmcnt(0) lgkmcnt(0)
	v_mul_f64 v[6:7], v[10:11], v[2:3]
	v_mul_f64 v[2:3], v[8:9], v[2:3]
	v_fma_f64 v[6:7], v[8:9], v[0:1], v[6:7]
	v_fma_f64 v[2:3], v[0:1], v[10:11], -v[2:3]
	v_mul_f64 v[0:1], v[6:7], s[0:1]
	v_mul_f64 v[2:3], v[2:3], s[0:1]
	v_mov_b32_e32 v6, s3
	v_addc_co_u32_e32 v15, vcc, v5, v6, vcc
	global_store_dwordx4 v[14:15], v[0:3], off
	global_load_dwordx4 v[0:3], v[12:13], off offset:1408
	ds_read_b128 v[4:7], v240 offset:9600
	ds_read_b128 v[8:11], v240 offset:10800
	s_waitcnt vmcnt(0) lgkmcnt(1)
	v_mul_f64 v[16:17], v[6:7], v[2:3]
	v_mul_f64 v[2:3], v[4:5], v[2:3]
	v_fma_f64 v[4:5], v[4:5], v[0:1], v[16:17]
	v_fma_f64 v[2:3], v[0:1], v[6:7], -v[2:3]
	v_mul_f64 v[0:1], v[4:5], s[0:1]
	v_mul_f64 v[2:3], v[2:3], s[0:1]
	v_mov_b32_e32 v5, s3
	v_add_co_u32_e32 v4, vcc, s2, v14
	v_addc_co_u32_e32 v5, vcc, v15, v5, vcc
	v_add_co_u32_e32 v14, vcc, s2, v4
	global_store_dwordx4 v[4:5], v[0:3], off
	global_load_dwordx4 v[0:3], v[12:13], off offset:2608
	s_waitcnt vmcnt(0) lgkmcnt(0)
	v_mul_f64 v[6:7], v[10:11], v[2:3]
	v_mul_f64 v[2:3], v[8:9], v[2:3]
	v_fma_f64 v[6:7], v[8:9], v[0:1], v[6:7]
	v_fma_f64 v[2:3], v[0:1], v[10:11], -v[2:3]
	v_mul_f64 v[0:1], v[6:7], s[0:1]
	v_mul_f64 v[2:3], v[2:3], s[0:1]
	v_mov_b32_e32 v6, s3
	v_addc_co_u32_e32 v15, vcc, v5, v6, vcc
	global_store_dwordx4 v[14:15], v[0:3], off
	global_load_dwordx4 v[0:3], v[12:13], off offset:3808
	ds_read_b128 v[4:7], v240 offset:12000
	ds_read_b128 v[8:11], v240 offset:13200
	s_waitcnt vmcnt(0) lgkmcnt(1)
	v_mul_f64 v[12:13], v[6:7], v[2:3]
	v_mul_f64 v[2:3], v[4:5], v[2:3]
	v_fma_f64 v[4:5], v[4:5], v[0:1], v[12:13]
	v_fma_f64 v[2:3], v[0:1], v[6:7], -v[2:3]
	v_add_co_u32_e32 v12, vcc, s4, v18
	v_addc_co_u32_e32 v13, vcc, 0, v19, vcc
	v_mov_b32_e32 v6, s3
	s_movk_i32 s4, 0x4000
	v_mul_f64 v[0:1], v[4:5], s[0:1]
	v_mul_f64 v[2:3], v[2:3], s[0:1]
	v_add_co_u32_e32 v4, vcc, s2, v14
	v_addc_co_u32_e32 v5, vcc, v15, v6, vcc
	v_add_co_u32_e32 v14, vcc, s2, v4
	global_store_dwordx4 v[4:5], v[0:3], off
	global_load_dwordx4 v[0:3], v[12:13], off offset:912
	s_waitcnt vmcnt(0) lgkmcnt(0)
	v_mul_f64 v[6:7], v[10:11], v[2:3]
	v_mul_f64 v[2:3], v[8:9], v[2:3]
	v_fma_f64 v[6:7], v[8:9], v[0:1], v[6:7]
	v_fma_f64 v[2:3], v[0:1], v[10:11], -v[2:3]
	v_mul_f64 v[0:1], v[6:7], s[0:1]
	v_mul_f64 v[2:3], v[2:3], s[0:1]
	v_mov_b32_e32 v6, s3
	v_addc_co_u32_e32 v15, vcc, v5, v6, vcc
	global_store_dwordx4 v[14:15], v[0:3], off
	global_load_dwordx4 v[0:3], v[12:13], off offset:2112
	ds_read_b128 v[4:7], v240 offset:14400
	ds_read_b128 v[8:11], v240 offset:15600
	s_waitcnt vmcnt(0) lgkmcnt(1)
	v_mul_f64 v[16:17], v[6:7], v[2:3]
	v_mul_f64 v[2:3], v[4:5], v[2:3]
	v_fma_f64 v[4:5], v[4:5], v[0:1], v[16:17]
	v_fma_f64 v[2:3], v[0:1], v[6:7], -v[2:3]
	v_mul_f64 v[0:1], v[4:5], s[0:1]
	v_mul_f64 v[2:3], v[2:3], s[0:1]
	v_mov_b32_e32 v5, s3
	v_add_co_u32_e32 v4, vcc, s2, v14
	v_addc_co_u32_e32 v5, vcc, v15, v5, vcc
	global_store_dwordx4 v[4:5], v[0:3], off
	global_load_dwordx4 v[0:3], v[12:13], off offset:3312
	v_add_co_u32_e32 v12, vcc, s4, v18
	v_addc_co_u32_e32 v13, vcc, 0, v19, vcc
	v_add_co_u32_e32 v14, vcc, s2, v4
	s_waitcnt vmcnt(0) lgkmcnt(0)
	v_mul_f64 v[6:7], v[10:11], v[2:3]
	v_mul_f64 v[2:3], v[8:9], v[2:3]
	v_fma_f64 v[6:7], v[8:9], v[0:1], v[6:7]
	v_fma_f64 v[2:3], v[0:1], v[10:11], -v[2:3]
	v_mov_b32_e32 v8, s3
	v_addc_co_u32_e32 v15, vcc, v5, v8, vcc
	v_mul_f64 v[0:1], v[6:7], s[0:1]
	v_mul_f64 v[2:3], v[2:3], s[0:1]
	global_store_dwordx4 v[14:15], v[0:3], off
	global_load_dwordx4 v[0:3], v[12:13], off offset:416
	ds_read_b128 v[4:7], v240 offset:16800
	ds_read_b128 v[8:11], v240 offset:18000
	s_waitcnt vmcnt(0) lgkmcnt(1)
	v_mul_f64 v[16:17], v[6:7], v[2:3]
	v_mul_f64 v[2:3], v[4:5], v[2:3]
	v_fma_f64 v[4:5], v[4:5], v[0:1], v[16:17]
	v_fma_f64 v[2:3], v[0:1], v[6:7], -v[2:3]
	v_mul_f64 v[0:1], v[4:5], s[0:1]
	v_mul_f64 v[2:3], v[2:3], s[0:1]
	v_mov_b32_e32 v5, s3
	v_add_co_u32_e32 v4, vcc, s2, v14
	v_addc_co_u32_e32 v5, vcc, v15, v5, vcc
	global_store_dwordx4 v[4:5], v[0:3], off
	global_load_dwordx4 v[0:3], v[12:13], off offset:1616
	s_waitcnt vmcnt(0) lgkmcnt(0)
	v_mul_f64 v[6:7], v[10:11], v[2:3]
	v_mul_f64 v[2:3], v[8:9], v[2:3]
	v_fma_f64 v[6:7], v[8:9], v[0:1], v[6:7]
	v_fma_f64 v[2:3], v[0:1], v[10:11], -v[2:3]
	v_add_co_u32_e32 v8, vcc, s2, v4
	v_mul_f64 v[0:1], v[6:7], s[0:1]
	v_mul_f64 v[2:3], v[2:3], s[0:1]
	v_mov_b32_e32 v6, s3
	v_addc_co_u32_e32 v9, vcc, v5, v6, vcc
	ds_read_b128 v[4:7], v240 offset:19200
	global_store_dwordx4 v[8:9], v[0:3], off
	global_load_dwordx4 v[0:3], v[12:13], off offset:2816
	s_waitcnt vmcnt(0) lgkmcnt(0)
	v_mul_f64 v[10:11], v[6:7], v[2:3]
	v_mul_f64 v[2:3], v[4:5], v[2:3]
	v_fma_f64 v[4:5], v[4:5], v[0:1], v[10:11]
	v_fma_f64 v[2:3], v[0:1], v[6:7], -v[2:3]
	v_mul_f64 v[0:1], v[4:5], s[0:1]
	v_mul_f64 v[2:3], v[2:3], s[0:1]
	v_mov_b32_e32 v5, s3
	v_add_co_u32_e32 v4, vcc, s2, v8
	v_addc_co_u32_e32 v5, vcc, v9, v5, vcc
	global_store_dwordx4 v[4:5], v[0:3], off
.LBB0_15:
	s_endpgm
	.section	.rodata,"a",@progbits
	.p2align	6, 0x0
	.amdhsa_kernel bluestein_single_fwd_len1275_dim1_dp_op_CI_CI
		.amdhsa_group_segment_fixed_size 61200
		.amdhsa_private_segment_fixed_size 524
		.amdhsa_kernarg_size 104
		.amdhsa_user_sgpr_count 6
		.amdhsa_user_sgpr_private_segment_buffer 1
		.amdhsa_user_sgpr_dispatch_ptr 0
		.amdhsa_user_sgpr_queue_ptr 0
		.amdhsa_user_sgpr_kernarg_segment_ptr 1
		.amdhsa_user_sgpr_dispatch_id 0
		.amdhsa_user_sgpr_flat_scratch_init 0
		.amdhsa_user_sgpr_private_segment_size 0
		.amdhsa_uses_dynamic_stack 0
		.amdhsa_system_sgpr_private_segment_wavefront_offset 1
		.amdhsa_system_sgpr_workgroup_id_x 1
		.amdhsa_system_sgpr_workgroup_id_y 0
		.amdhsa_system_sgpr_workgroup_id_z 0
		.amdhsa_system_sgpr_workgroup_info 0
		.amdhsa_system_vgpr_workitem_id 0
		.amdhsa_next_free_vgpr 256
		.amdhsa_next_free_sgpr 68
		.amdhsa_reserve_vcc 1
		.amdhsa_reserve_flat_scratch 0
		.amdhsa_float_round_mode_32 0
		.amdhsa_float_round_mode_16_64 0
		.amdhsa_float_denorm_mode_32 3
		.amdhsa_float_denorm_mode_16_64 3
		.amdhsa_dx10_clamp 1
		.amdhsa_ieee_mode 1
		.amdhsa_fp16_overflow 0
		.amdhsa_exception_fp_ieee_invalid_op 0
		.amdhsa_exception_fp_denorm_src 0
		.amdhsa_exception_fp_ieee_div_zero 0
		.amdhsa_exception_fp_ieee_overflow 0
		.amdhsa_exception_fp_ieee_underflow 0
		.amdhsa_exception_fp_ieee_inexact 0
		.amdhsa_exception_int_div_zero 0
	.end_amdhsa_kernel
	.text
.Lfunc_end0:
	.size	bluestein_single_fwd_len1275_dim1_dp_op_CI_CI, .Lfunc_end0-bluestein_single_fwd_len1275_dim1_dp_op_CI_CI
                                        ; -- End function
	.section	.AMDGPU.csdata,"",@progbits
; Kernel info:
; codeLenInByte = 31996
; NumSgprs: 72
; NumVgprs: 256
; ScratchSize: 524
; MemoryBound: 0
; FloatMode: 240
; IeeeMode: 1
; LDSByteSize: 61200 bytes/workgroup (compile time only)
; SGPRBlocks: 8
; VGPRBlocks: 63
; NumSGPRsForWavesPerEU: 72
; NumVGPRsForWavesPerEU: 256
; Occupancy: 1
; WaveLimiterHint : 1
; COMPUTE_PGM_RSRC2:SCRATCH_EN: 1
; COMPUTE_PGM_RSRC2:USER_SGPR: 6
; COMPUTE_PGM_RSRC2:TRAP_HANDLER: 0
; COMPUTE_PGM_RSRC2:TGID_X_EN: 1
; COMPUTE_PGM_RSRC2:TGID_Y_EN: 0
; COMPUTE_PGM_RSRC2:TGID_Z_EN: 0
; COMPUTE_PGM_RSRC2:TIDIG_COMP_CNT: 0
	.type	__hip_cuid_8c3880cb29cdafd3,@object ; @__hip_cuid_8c3880cb29cdafd3
	.section	.bss,"aw",@nobits
	.globl	__hip_cuid_8c3880cb29cdafd3
__hip_cuid_8c3880cb29cdafd3:
	.byte	0                               ; 0x0
	.size	__hip_cuid_8c3880cb29cdafd3, 1

	.ident	"AMD clang version 19.0.0git (https://github.com/RadeonOpenCompute/llvm-project roc-6.4.0 25133 c7fe45cf4b819c5991fe208aaa96edf142730f1d)"
	.section	".note.GNU-stack","",@progbits
	.addrsig
	.addrsig_sym __hip_cuid_8c3880cb29cdafd3
	.amdgpu_metadata
---
amdhsa.kernels:
  - .args:
      - .actual_access:  read_only
        .address_space:  global
        .offset:         0
        .size:           8
        .value_kind:     global_buffer
      - .actual_access:  read_only
        .address_space:  global
        .offset:         8
        .size:           8
        .value_kind:     global_buffer
      - .actual_access:  read_only
        .address_space:  global
        .offset:         16
        .size:           8
        .value_kind:     global_buffer
      - .actual_access:  read_only
        .address_space:  global
        .offset:         24
        .size:           8
        .value_kind:     global_buffer
      - .actual_access:  read_only
        .address_space:  global
        .offset:         32
        .size:           8
        .value_kind:     global_buffer
      - .offset:         40
        .size:           8
        .value_kind:     by_value
      - .address_space:  global
        .offset:         48
        .size:           8
        .value_kind:     global_buffer
      - .address_space:  global
        .offset:         56
        .size:           8
        .value_kind:     global_buffer
      - .address_space:  global
        .offset:         64
        .size:           8
        .value_kind:     global_buffer
      - .address_space:  global
        .offset:         72
        .size:           8
        .value_kind:     global_buffer
      - .offset:         80
        .size:           4
        .value_kind:     by_value
      - .address_space:  global
        .offset:         88
        .size:           8
        .value_kind:     global_buffer
      - .address_space:  global
        .offset:         96
        .size:           8
        .value_kind:     global_buffer
    .group_segment_fixed_size: 61200
    .kernarg_segment_align: 8
    .kernarg_segment_size: 104
    .language:       OpenCL C
    .language_version:
      - 2
      - 0
    .max_flat_workgroup_size: 255
    .name:           bluestein_single_fwd_len1275_dim1_dp_op_CI_CI
    .private_segment_fixed_size: 524
    .sgpr_count:     72
    .sgpr_spill_count: 0
    .symbol:         bluestein_single_fwd_len1275_dim1_dp_op_CI_CI.kd
    .uniform_work_group_size: 1
    .uses_dynamic_stack: false
    .vgpr_count:     256
    .vgpr_spill_count: 148
    .wavefront_size: 64
amdhsa.target:   amdgcn-amd-amdhsa--gfx906
amdhsa.version:
  - 1
  - 2
...

	.end_amdgpu_metadata
